;; amdgpu-corpus repo=ROCm/rocFFT kind=compiled arch=gfx1201 opt=O3
	.text
	.amdgcn_target "amdgcn-amd-amdhsa--gfx1201"
	.amdhsa_code_object_version 6
	.protected	bluestein_single_back_len429_dim1_sp_op_CI_CI ; -- Begin function bluestein_single_back_len429_dim1_sp_op_CI_CI
	.globl	bluestein_single_back_len429_dim1_sp_op_CI_CI
	.p2align	8
	.type	bluestein_single_back_len429_dim1_sp_op_CI_CI,@function
bluestein_single_back_len429_dim1_sp_op_CI_CI: ; @bluestein_single_back_len429_dim1_sp_op_CI_CI
; %bb.0:
	s_load_b128 s[8:11], s[0:1], 0x28
	v_mul_u32_u24_e32 v1, 0x691, v0
	s_mov_b32 s2, exec_lo
	s_delay_alu instid0(VALU_DEP_1) | instskip(NEXT) | instid1(VALU_DEP_1)
	v_lshrrev_b32_e32 v1, 16, v1
	v_mad_co_u64_u32 v[64:65], null, ttmp9, 3, v[1:2]
	v_mov_b32_e32 v65, 0
                                        ; kill: def $vgpr2 killed $sgpr0 killed $exec
	s_wait_kmcnt 0x0
	s_delay_alu instid0(VALU_DEP_1)
	v_cmpx_gt_u64_e64 s[8:9], v[64:65]
	s_cbranch_execz .LBB0_23
; %bb.1:
	v_mul_hi_u32 v2, 0xaaaaaaab, v64
	s_clause 0x1
	s_load_b64 s[8:9], s[0:1], 0x0
	s_load_b64 s[12:13], s[0:1], 0x38
	v_mul_lo_u16 v1, v1, 39
	s_delay_alu instid0(VALU_DEP_1) | instskip(NEXT) | instid1(VALU_DEP_3)
	v_sub_nc_u16 v0, v0, v1
	v_lshrrev_b32_e32 v2, 1, v2
	s_delay_alu instid0(VALU_DEP_2) | instskip(NEXT) | instid1(VALU_DEP_2)
	v_and_b32_e32 v70, 0xffff, v0
	v_lshl_add_u32 v2, v2, 1, v2
	v_cmp_gt_u16_e32 vcc_lo, 33, v0
	s_delay_alu instid0(VALU_DEP_3) | instskip(NEXT) | instid1(VALU_DEP_3)
	v_lshlrev_b32_e32 v69, 3, v70
	v_sub_nc_u32_e32 v1, v64, v2
	s_delay_alu instid0(VALU_DEP_1) | instskip(NEXT) | instid1(VALU_DEP_1)
	v_mul_u32_u24_e32 v42, 0x1ad, v1
	v_lshlrev_b32_e32 v71, 3, v42
	s_and_saveexec_b32 s3, vcc_lo
	s_cbranch_execz .LBB0_3
; %bb.2:
	s_load_b64 s[4:5], s[0:1], 0x18
	s_delay_alu instid0(VALU_DEP_1)
	v_lshl_add_u32 v56, v70, 3, v71
	s_wait_kmcnt 0x0
	s_load_b128 s[4:7], s[4:5], 0x0
	s_wait_kmcnt 0x0
	v_mad_co_u64_u32 v[0:1], null, s6, v64, 0
	v_mad_co_u64_u32 v[2:3], null, s4, v70, 0
	s_delay_alu instid0(VALU_DEP_1) | instskip(NEXT) | instid1(VALU_DEP_1)
	v_mad_co_u64_u32 v[4:5], null, s7, v64, v[1:2]
	v_mad_co_u64_u32 v[5:6], null, s5, v70, v[3:4]
	v_mov_b32_e32 v1, v4
	s_mul_u64 s[4:5], s[4:5], 0x108
	s_delay_alu instid0(VALU_DEP_1) | instskip(NEXT) | instid1(VALU_DEP_3)
	v_lshlrev_b64_e32 v[0:1], 3, v[0:1]
	v_mov_b32_e32 v3, v5
	s_delay_alu instid0(VALU_DEP_2) | instskip(NEXT) | instid1(VALU_DEP_2)
	v_add_co_u32 v10, s2, s10, v0
	v_lshlrev_b64_e32 v[2:3], 3, v[2:3]
	s_delay_alu instid0(VALU_DEP_4)
	v_add_co_ci_u32_e64 v11, s2, s11, v1, s2
	s_clause 0xa
	global_load_b64 v[0:1], v69, s[8:9]
	global_load_b64 v[4:5], v69, s[8:9] offset:264
	global_load_b64 v[6:7], v69, s[8:9] offset:528
	;; [unrolled: 1-line block ×10, first 2 shown]
	v_add_co_u32 v2, s2, v10, v2
	s_wait_alu 0xf1ff
	v_add_co_ci_u32_e64 v3, s2, v11, v3, s2
	s_wait_alu 0xfffe
	s_delay_alu instid0(VALU_DEP_2) | instskip(SKIP_1) | instid1(VALU_DEP_2)
	v_add_co_u32 v10, s2, v2, s4
	s_wait_alu 0xf1ff
	v_add_co_ci_u32_e64 v11, s2, s5, v3, s2
	global_load_b64 v[2:3], v[2:3], off
	v_add_co_u32 v20, s2, v10, s4
	s_wait_alu 0xf1ff
	v_add_co_ci_u32_e64 v21, s2, s5, v11, s2
	s_delay_alu instid0(VALU_DEP_2) | instskip(SKIP_1) | instid1(VALU_DEP_2)
	v_add_co_u32 v28, s2, v20, s4
	s_wait_alu 0xf1ff
	v_add_co_ci_u32_e64 v29, s2, s5, v21, s2
	s_delay_alu instid0(VALU_DEP_2) | instskip(SKIP_1) | instid1(VALU_DEP_2)
	v_add_co_u32 v30, s2, v28, s4
	s_wait_alu 0xf1ff
	v_add_co_ci_u32_e64 v31, s2, s5, v29, s2
	s_clause 0x2
	global_load_b64 v[10:11], v[10:11], off
	global_load_b64 v[20:21], v[20:21], off
	;; [unrolled: 1-line block ×3, first 2 shown]
	v_add_co_u32 v32, s2, v30, s4
	s_wait_alu 0xf1ff
	v_add_co_ci_u32_e64 v33, s2, s5, v31, s2
	global_load_b64 v[30:31], v[30:31], off
	v_add_co_u32 v34, s2, v32, s4
	s_wait_alu 0xf1ff
	v_add_co_ci_u32_e64 v35, s2, s5, v33, s2
	global_load_b64 v[32:33], v[32:33], off
	;; [unrolled: 4-line block ×7, first 2 shown]
	v_add_co_u32 v47, s2, v45, s4
	s_wait_alu 0xf1ff
	v_add_co_ci_u32_e64 v48, s2, s5, v46, s2
	global_load_b64 v[49:50], v69, s[8:9] offset:2904
	global_load_b64 v[45:46], v[45:46], off
	global_load_b64 v[51:52], v69, s[8:9] offset:3168
	global_load_b64 v[47:48], v[47:48], off
	s_wait_loadcnt 0xe
	v_mul_f32_e32 v54, v2, v1
	v_mul_f32_e32 v53, v3, v1
	s_delay_alu instid0(VALU_DEP_2) | instskip(NEXT) | instid1(VALU_DEP_2)
	v_fma_f32 v54, v3, v0, -v54
	v_fmac_f32_e32 v53, v2, v0
	s_wait_loadcnt 0xd
	v_mul_f32_e32 v1, v11, v5
	s_wait_loadcnt 0xc
	v_dual_mul_f32 v2, v10, v5 :: v_dual_mul_f32 v5, v21, v7
	s_wait_loadcnt 0xb
	v_dual_mul_f32 v7, v20, v7 :: v_dual_mul_f32 v0, v29, v9
	v_add_nc_u32_e32 v55, v71, v69
	v_fmac_f32_e32 v1, v10, v4
	v_fma_f32 v2, v11, v4, -v2
	v_fmac_f32_e32 v5, v20, v6
	v_fma_f32 v6, v21, v6, -v7
	ds_store_b64 v56, v[53:54]
	v_fmac_f32_e32 v0, v28, v8
	s_wait_loadcnt 0x9
	v_mul_f32_e32 v4, v33, v15
	v_add_nc_u32_e32 v57, 0x400, v55
	v_add_nc_u32_e32 v20, 0x800, v55
	s_delay_alu instid0(VALU_DEP_3)
	v_fmac_f32_e32 v4, v32, v14
	ds_store_2addr_b64 v55, v[1:2], v[5:6] offset0:33 offset1:66
	v_mul_f32_e32 v2, v31, v13
	s_wait_loadcnt 0x8
	v_mul_f32_e32 v6, v35, v17
	v_mul_f32_e32 v3, v28, v9
	;; [unrolled: 1-line block ×3, first 2 shown]
	v_fmac_f32_e32 v2, v30, v12
	s_delay_alu instid0(VALU_DEP_4) | instskip(NEXT) | instid1(VALU_DEP_4)
	v_fmac_f32_e32 v6, v34, v16
	v_fma_f32 v1, v29, v8, -v3
	s_wait_loadcnt 0x6
	v_mul_f32_e32 v10, v39, v23
	v_dual_mul_f32 v8, v37, v19 :: v_dual_mul_f32 v5, v30, v13
	v_mul_f32_e32 v9, v36, v19
	v_fma_f32 v7, v35, v16, -v7
	s_delay_alu instid0(VALU_DEP_4) | instskip(NEXT) | instid1(VALU_DEP_4)
	v_fmac_f32_e32 v10, v38, v22
	v_fmac_f32_e32 v8, v36, v18
	v_fma_f32 v3, v31, v12, -v5
	s_wait_loadcnt 0x5
	v_dual_mul_f32 v5, v32, v15 :: v_dual_mul_f32 v12, v41, v25
	v_mul_f32_e32 v11, v38, v23
	s_wait_loadcnt 0x4
	v_mul_f32_e32 v15, v43, v27
	v_fma_f32 v9, v37, v18, -v9
	s_wait_loadcnt 0x2
	v_mul_f32_e32 v16, v46, v50
	v_fma_f32 v5, v33, v14, -v5
	v_dual_mul_f32 v14, v44, v27 :: v_dual_mul_f32 v17, v45, v50
	v_mul_f32_e32 v13, v40, v25
	s_wait_loadcnt 0x0
	v_mul_f32_e32 v18, v48, v52
	v_dual_mul_f32 v19, v47, v52 :: v_dual_fmac_f32 v16, v45, v49
	v_fmac_f32_e32 v12, v40, v24
	v_fma_f32 v11, v39, v22, -v11
	v_fmac_f32_e32 v14, v43, v26
	v_fma_f32 v13, v41, v24, -v13
	v_fma_f32 v15, v44, v26, -v15
	;; [unrolled: 1-line block ×3, first 2 shown]
	v_fmac_f32_e32 v18, v47, v51
	v_fma_f32 v19, v48, v51, -v19
	ds_store_2addr_b64 v55, v[0:1], v[2:3] offset0:99 offset1:132
	ds_store_2addr_b64 v55, v[4:5], v[6:7] offset0:165 offset1:198
	;; [unrolled: 1-line block ×5, first 2 shown]
.LBB0_3:
	s_or_b32 exec_lo, exec_lo, s3
	v_mov_b32_e32 v4, 0
	v_mov_b32_e32 v5, 0
	global_wb scope:SCOPE_SE
	s_wait_dscnt 0x0
	s_wait_kmcnt 0x0
	s_barrier_signal -1
	s_barrier_wait -1
	global_inv scope:SCOPE_SE
                                        ; implicit-def: $vgpr18
                                        ; implicit-def: $vgpr12
                                        ; implicit-def: $vgpr8
                                        ; implicit-def: $vgpr28
                                        ; implicit-def: $vgpr22
                                        ; implicit-def: $vgpr26
	s_and_saveexec_b32 s2, vcc_lo
	s_cbranch_execz .LBB0_5
; %bb.4:
	v_lshl_add_u32 v0, v42, 3, v69
	s_delay_alu instid0(VALU_DEP_1)
	v_add_nc_u32_e32 v1, 0x800, v0
	ds_load_2addr_b64 v[4:7], v0 offset1:33
	ds_load_2addr_b64 v[24:27], v0 offset0:66 offset1:99
	ds_load_2addr_b64 v[20:23], v0 offset0:132 offset1:165
	;; [unrolled: 1-line block ×5, first 2 shown]
	ds_load_b64 v[28:29], v0 offset:3168
.LBB0_5:
	s_wait_alu 0xfffe
	s_or_b32 exec_lo, exec_lo, s2
	s_wait_dscnt 0x0
	v_dual_sub_f32 v84, v7, v29 :: v_dual_sub_f32 v87, v6, v28
	v_dual_add_f32 v30, v28, v6 :: v_dual_add_f32 v31, v29, v7
	v_sub_f32_e32 v104, v20, v14
	s_delay_alu instid0(VALU_DEP_3) | instskip(SKIP_2) | instid1(VALU_DEP_3)
	v_dual_mul_f32 v40, 0xbeedf032, v84 :: v_dual_mul_f32 v45, 0xbeedf032, v87
	v_dual_mul_f32 v50, 0xbf52af12, v84 :: v_dual_mul_f32 v55, 0xbf52af12, v87
	v_dual_mul_f32 v59, 0xbf7e222b, v84 :: v_dual_sub_f32 v90, v25, v11
	v_fma_f32 v1, 0x3f62ad3f, v31, -v45
	s_delay_alu instid0(VALU_DEP_4) | instskip(NEXT) | instid1(VALU_DEP_4)
	v_fmamk_f32 v0, v30, 0x3f62ad3f, v40
	v_fma_f32 v3, 0x3f116cb1, v31, -v55
	v_fmamk_f32 v2, v30, 0x3f116cb1, v50
	v_mul_f32_e32 v63, 0xbf7e222b, v87
	s_delay_alu instid0(VALU_DEP_4) | instskip(SKIP_1) | instid1(VALU_DEP_3)
	v_dual_add_f32 v1, v1, v5 :: v_dual_add_f32 v0, v0, v4
	v_dual_mul_f32 v79, 0xbf6f5d39, v84 :: v_dual_mul_f32 v82, 0xbf6f5d39, v87
	v_fma_f32 v33, 0x3df6dbef, v31, -v63
	v_dual_fmamk_f32 v32, v30, 0x3df6dbef, v59 :: v_dual_add_f32 v3, v3, v5
	v_dual_add_f32 v2, v2, v4 :: v_dual_mul_f32 v43, 0xbf52af12, v90
	s_delay_alu instid0(VALU_DEP_4) | instskip(NEXT) | instid1(VALU_DEP_3)
	v_fmamk_f32 v35, v30, 0xbeb58ec6, v79
	v_dual_add_f32 v37, v33, v5 :: v_dual_add_f32 v34, v32, v4
	v_dual_add_f32 v32, v10, v24 :: v_dual_sub_f32 v93, v24, v10
	s_delay_alu instid0(VALU_DEP_3) | instskip(SKIP_1) | instid1(VALU_DEP_3)
	v_dual_add_f32 v39, v35, v4 :: v_dual_mul_f32 v66, 0xbe750f2a, v90
	v_fma_f32 v36, 0xbeb58ec6, v31, -v82
	v_dual_fmamk_f32 v38, v32, 0x3f116cb1, v43 :: v_dual_add_f32 v33, v11, v25
	s_delay_alu instid0(VALU_DEP_4) | instskip(SKIP_1) | instid1(VALU_DEP_3)
	v_mul_f32_e32 v48, 0xbf52af12, v93
	v_mul_f32_e32 v60, 0xbf6f5d39, v93
	v_dual_mul_f32 v75, 0xbe750f2a, v93 :: v_dual_add_f32 v0, v38, v0
	v_dual_fmamk_f32 v44, v32, 0xbf788fa5, v66 :: v_dual_sub_f32 v97, v27, v9
	s_delay_alu instid0(VALU_DEP_4) | instskip(SKIP_3) | instid1(VALU_DEP_4)
	v_fma_f32 v35, 0x3f116cb1, v33, -v48
	v_mul_f32_e32 v56, 0xbf6f5d39, v90
	v_fma_f32 v41, 0xbeb58ec6, v33, -v60
	v_dual_mul_f32 v85, 0x3f29c268, v90 :: v_dual_mul_f32 v92, 0x3f29c268, v93
	v_add_f32_e32 v1, v35, v1
	v_fma_f32 v35, 0xbf788fa5, v33, -v75
	v_fmamk_f32 v38, v32, 0xbeb58ec6, v56
	v_dual_sub_f32 v98, v26, v8 :: v_dual_mul_f32 v61, 0xbe750f2a, v97
	v_dual_add_f32 v36, v36, v5 :: v_dual_add_f32 v3, v41, v3
	s_delay_alu instid0(VALU_DEP_3)
	v_dual_add_f32 v37, v35, v37 :: v_dual_add_f32 v2, v38, v2
	v_fmamk_f32 v41, v32, 0xbf3f9e67, v85
	v_dual_add_f32 v38, v44, v34 :: v_dual_mul_f32 v47, 0xbf7e222b, v97
	v_add_f32_e32 v35, v9, v27
	v_fma_f32 v44, 0xbf3f9e67, v33, -v92
	v_mul_f32_e32 v51, 0xbf7e222b, v98
	v_dual_add_f32 v39, v41, v39 :: v_dual_mul_f32 v68, 0xbe750f2a, v98
	s_delay_alu instid0(VALU_DEP_3) | instskip(NEXT) | instid1(VALU_DEP_3)
	v_dual_mul_f32 v77, 0x3f6f5d39, v97 :: v_dual_add_f32 v36, v44, v36
	v_fma_f32 v41, 0x3df6dbef, v35, -v51
	v_dual_add_f32 v34, v8, v26 :: v_dual_mul_f32 v91, 0x3eedf032, v97
	v_mul_f32_e32 v95, 0x3eedf032, v98
	v_sub_f32_e32 v103, v21, v15
	s_delay_alu instid0(VALU_DEP_4) | instskip(SKIP_4) | instid1(VALU_DEP_3)
	v_add_f32_e32 v1, v41, v1
	v_fma_f32 v41, 0xbf788fa5, v35, -v68
	v_fmamk_f32 v46, v34, 0x3df6dbef, v47
	v_fmamk_f32 v44, v34, 0xbf788fa5, v61
	v_dual_sub_f32 v108, v23, v13 :: v_dual_mul_f32 v67, 0x3f29c268, v103
	v_dual_add_f32 v3, v41, v3 :: v_dual_add_f32 v0, v46, v0
	s_delay_alu instid0(VALU_DEP_3)
	v_add_f32_e32 v2, v44, v2
	v_fmamk_f32 v44, v34, 0xbeb58ec6, v77
	v_fmamk_f32 v41, v34, 0x3f62ad3f, v91
	v_sub_f32_e32 v109, v22, v12
	s_clause 0x1
	s_load_b64 s[4:5], s[0:1], 0x20
	s_load_b64 s[2:3], s[0:1], 0x8
	global_wb scope:SCOPE_SE
	v_add_f32_e32 v38, v44, v38
	v_dual_mul_f32 v80, 0x3f6f5d39, v98 :: v_dual_add_f32 v39, v41, v39
	v_fma_f32 v44, 0x3f62ad3f, v35, -v95
	v_dual_add_f32 v41, v14, v20 :: v_dual_mul_f32 v54, 0xbf6f5d39, v103
	v_mul_f32_e32 v57, 0xbf6f5d39, v104
	s_delay_alu instid0(VALU_DEP_4) | instskip(NEXT) | instid1(VALU_DEP_4)
	v_fma_f32 v46, 0xbeb58ec6, v35, -v80
	v_add_f32_e32 v36, v44, v36
	v_add_f32_e32 v44, v15, v21
	v_mul_f32_e32 v76, 0x3f29c268, v104
	v_mul_f32_e32 v101, 0xbf7e222b, v104
	v_dual_add_f32 v37, v46, v37 :: v_dual_fmamk_f32 v46, v41, 0xbeb58ec6, v54
	v_mul_f32_e32 v83, 0x3eedf032, v103
	v_fma_f32 v49, 0xbeb58ec6, v44, -v57
	v_mul_f32_e32 v86, 0x3eedf032, v104
	v_fma_f32 v53, 0xbf3f9e67, v44, -v76
	v_add_f32_e32 v0, v46, v0
	v_fmamk_f32 v46, v41, 0x3f62ad3f, v83
	v_add_f32_e32 v1, v49, v1
	v_fma_f32 v49, 0x3f62ad3f, v44, -v86
	v_add_f32_e32 v3, v53, v3
	v_fma_f32 v53, 0x3df6dbef, v44, -v101
	v_dual_add_f32 v38, v46, v38 :: v_dual_mul_f32 v99, 0xbf7e222b, v103
	s_delay_alu instid0(VALU_DEP_4)
	v_add_f32_e32 v37, v49, v37
	v_dual_add_f32 v49, v13, v23 :: v_dual_add_f32 v46, v12, v22
	v_mul_f32_e32 v73, 0x3f7e222b, v108
	v_mul_f32_e32 v58, 0xbf29c268, v108
	v_fmamk_f32 v52, v41, 0xbf3f9e67, v67
	v_dual_add_f32 v36, v53, v36 :: v_dual_mul_f32 v81, 0x3f7e222b, v109
	s_delay_alu instid0(VALU_DEP_4) | instskip(NEXT) | instid1(VALU_DEP_3)
	v_fmamk_f32 v53, v46, 0x3df6dbef, v73
	v_dual_fmamk_f32 v65, v46, 0xbf3f9e67, v58 :: v_dual_add_f32 v2, v52, v2
	v_mul_f32_e32 v102, 0x3e750f2a, v108
	v_dual_mul_f32 v62, 0xbf29c268, v109 :: v_dual_sub_f32 v111, v16, v18
	s_delay_alu instid0(VALU_DEP_3) | instskip(NEXT) | instid1(VALU_DEP_4)
	v_add_f32_e32 v0, v65, v0
	v_dual_add_f32 v96, v53, v2 :: v_dual_mul_f32 v105, 0x3e750f2a, v109
	s_delay_alu instid0(VALU_DEP_4) | instskip(SKIP_4) | instid1(VALU_DEP_4)
	v_fmamk_f32 v2, v46, 0xbf788fa5, v102
	v_mul_f32_e32 v94, 0xbf52af12, v109
	v_mul_f32_e32 v107, 0x3f52af12, v111
	v_fma_f32 v65, 0x3df6dbef, v49, -v81
	v_dual_mul_f32 v88, 0xbf52af12, v108 :: v_dual_add_f32 v53, v19, v17
	v_fma_f32 v74, 0x3f116cb1, v49, -v94
	v_fmamk_f32 v52, v41, 0x3df6dbef, v99
	v_mul_f32_e32 v100, 0xbf29c268, v111
	s_wait_kmcnt 0x0
	s_barrier_signal -1
	v_fma_f32 v115, 0x3f116cb1, v53, -v107
	v_add_f32_e32 v37, v74, v37
	v_add_f32_e32 v39, v52, v39
	v_fma_f32 v52, 0xbf3f9e67, v49, -v62
	s_barrier_wait -1
	global_inv scope:SCOPE_SE
	v_add_f32_e32 v113, v2, v39
	v_dual_add_f32 v1, v52, v1 :: v_dual_add_f32 v52, v18, v16
	v_sub_f32_e32 v110, v17, v19
	s_delay_alu instid0(VALU_DEP_1) | instskip(NEXT) | instid1(VALU_DEP_1)
	v_mul_f32_e32 v78, 0x3eedf032, v110
	v_dual_fmamk_f32 v39, v52, 0x3f62ad3f, v78 :: v_dual_add_f32 v112, v65, v3
	v_dual_mul_f32 v65, 0xbe750f2a, v110 :: v_dual_mul_f32 v74, 0xbe750f2a, v111
	v_fma_f32 v3, 0xbf788fa5, v49, -v105
	v_mul_f32_e32 v106, 0x3f52af12, v110
	s_delay_alu instid0(VALU_DEP_3) | instskip(SKIP_1) | instid1(VALU_DEP_2)
	v_fma_f32 v89, 0xbf788fa5, v53, -v74
	v_fmamk_f32 v72, v46, 0x3f116cb1, v88
	v_dual_add_f32 v114, v3, v36 :: v_dual_add_f32 v3, v89, v1
	s_delay_alu instid0(VALU_DEP_2) | instskip(SKIP_1) | instid1(VALU_DEP_2)
	v_dual_add_f32 v38, v72, v38 :: v_dual_mul_f32 v89, 0x3eedf032, v111
	v_fmamk_f32 v72, v52, 0xbf788fa5, v65
	v_fma_f32 v1, 0x3f62ad3f, v53, -v89
	s_delay_alu instid0(VALU_DEP_2) | instskip(SKIP_4) | instid1(VALU_DEP_2)
	v_add_f32_e32 v2, v72, v0
	v_add_f32_e32 v0, v39, v96
	v_mul_f32_e32 v96, 0xbf29c268, v110
	v_fma_f32 v39, 0xbf3f9e67, v53, -v100
	v_dual_fmamk_f32 v72, v52, 0x3f116cb1, v106 :: v_dual_add_f32 v1, v1, v112
	v_dual_fmamk_f32 v36, v52, 0xbf3f9e67, v96 :: v_dual_add_f32 v39, v39, v37
	v_add_f32_e32 v37, v115, v114
	s_delay_alu instid0(VALU_DEP_2) | instskip(NEXT) | instid1(VALU_DEP_4)
	v_add_f32_e32 v38, v36, v38
	v_add_f32_e32 v36, v72, v113
	v_mul_lo_u16 v72, v70, 13
	s_and_saveexec_b32 s0, vcc_lo
	s_cbranch_execz .LBB0_7
; %bb.6:
	v_mul_f32_e32 v117, 0x3eedf032, v90
	v_dual_mul_f32 v118, 0xbf29c268, v98 :: v_dual_mul_f32 v119, 0xbf29c268, v97
	v_dual_mul_f32 v120, 0x3f52af12, v104 :: v_dual_mul_f32 v123, 0x3f52af12, v103
	s_delay_alu instid0(VALU_DEP_3) | instskip(SKIP_1) | instid1(VALU_DEP_4)
	v_fma_f32 v122, 0x3f62ad3f, v32, -v117
	v_mul_f32_e32 v116, 0xbe750f2a, v84
	v_fmamk_f32 v124, v35, 0xbf3f9e67, v118
	v_dual_mul_f32 v104, 0x3e750f2a, v104 :: v_dual_mul_f32 v103, 0x3e750f2a, v103
	v_mul_f32_e32 v132, 0xbeb58ec6, v31
	s_delay_alu instid0(VALU_DEP_4) | instskip(SKIP_2) | instid1(VALU_DEP_4)
	v_fma_f32 v113, 0xbf788fa5, v30, -v116
	v_mul_f32_e32 v114, 0xbe750f2a, v87
	v_mul_f32_e32 v128, 0x3f7e222b, v90
	v_dual_mul_f32 v87, 0xbf29c268, v87 :: v_dual_add_f32 v82, v82, v132
	s_delay_alu instid0(VALU_DEP_4) | instskip(NEXT) | instid1(VALU_DEP_3)
	v_dual_add_f32 v113, v113, v4 :: v_dual_mul_f32 v98, 0xbf52af12, v98
	v_fma_f32 v129, 0x3df6dbef, v32, -v128
	v_mul_f32_e32 v97, 0xbf52af12, v97
	s_delay_alu instid0(VALU_DEP_4) | instskip(NEXT) | instid1(VALU_DEP_4)
	v_add_f32_e32 v82, v82, v5
	v_dual_add_f32 v113, v122, v113 :: v_dual_fmamk_f32 v112, v31, 0xbf788fa5, v114
	v_mul_f32_e32 v122, 0xbf6f5d39, v109
	v_mul_f32_e32 v109, 0x3eedf032, v109
	v_fmac_f32_e32 v116, 0xbf788fa5, v30
	v_fmac_f32_e32 v128, 0x3df6dbef, v32
	v_add_f32_e32 v112, v112, v5
	v_mul_f32_e32 v115, 0x3eedf032, v93
	v_mul_f32_e32 v93, 0x3f7e222b, v93
	s_delay_alu instid0(VALU_DEP_2) | instskip(NEXT) | instid1(VALU_DEP_2)
	v_fmamk_f32 v121, v33, 0x3f62ad3f, v115
	v_fmamk_f32 v90, v33, 0x3df6dbef, v93
	s_delay_alu instid0(VALU_DEP_2) | instskip(SKIP_1) | instid1(VALU_DEP_2)
	v_dual_fmamk_f32 v125, v44, 0x3f116cb1, v120 :: v_dual_add_f32 v112, v121, v112
	v_fma_f32 v121, 0xbf3f9e67, v34, -v119
	v_add_f32_e32 v112, v124, v112
	v_fma_f32 v124, 0x3f116cb1, v41, -v123
	s_delay_alu instid0(VALU_DEP_3) | instskip(SKIP_3) | instid1(VALU_DEP_4)
	v_add_f32_e32 v113, v121, v113
	v_mul_f32_e32 v121, 0xbf6f5d39, v108
	v_mul_f32_e32 v126, 0x3f7e222b, v111
	v_add_f32_e32 v112, v125, v112
	v_dual_mul_f32 v108, 0x3eedf032, v108 :: v_dual_add_f32 v113, v124, v113
	s_delay_alu instid0(VALU_DEP_4) | instskip(SKIP_2) | instid1(VALU_DEP_4)
	v_fma_f32 v124, 0xbeb58ec6, v46, -v121
	v_fmamk_f32 v125, v49, 0xbeb58ec6, v122
	v_mul_f32_e32 v111, 0xbf6f5d39, v111
	v_fma_f32 v131, 0x3f62ad3f, v46, -v108
	s_delay_alu instid0(VALU_DEP_4) | instskip(NEXT) | instid1(VALU_DEP_4)
	v_add_f32_e32 v124, v124, v113
	v_add_f32_e32 v112, v125, v112
	v_mul_f32_e32 v125, 0xbf29c268, v84
	v_fmamk_f32 v84, v31, 0xbf3f9e67, v87
	s_delay_alu instid0(VALU_DEP_1) | instskip(NEXT) | instid1(VALU_DEP_1)
	v_dual_fmamk_f32 v127, v53, 0x3df6dbef, v126 :: v_dual_add_f32 v84, v84, v5
	v_add_f32_e32 v113, v127, v112
	s_delay_alu instid0(VALU_DEP_4) | instskip(NEXT) | instid1(VALU_DEP_3)
	v_fma_f32 v112, 0xbf3f9e67, v30, -v125
	v_dual_mul_f32 v127, 0x3f7e222b, v110 :: v_dual_add_f32 v84, v90, v84
	s_delay_alu instid0(VALU_DEP_2) | instskip(NEXT) | instid1(VALU_DEP_2)
	v_add_f32_e32 v112, v112, v4
	v_fma_f32 v130, 0x3df6dbef, v52, -v127
	v_fmac_f32_e32 v127, 0x3df6dbef, v52
	s_delay_alu instid0(VALU_DEP_3) | instskip(SKIP_1) | instid1(VALU_DEP_1)
	v_dual_fmac_f32 v121, 0xbeb58ec6, v46 :: v_dual_add_f32 v112, v129, v112
	v_fma_f32 v129, 0x3f116cb1, v34, -v97
	v_add_f32_e32 v112, v129, v112
	v_fma_f32 v129, 0xbf788fa5, v41, -v103
	v_fmac_f32_e32 v103, 0xbf788fa5, v41
	s_delay_alu instid0(VALU_DEP_2) | instskip(SKIP_3) | instid1(VALU_DEP_4)
	v_add_f32_e32 v129, v129, v112
	v_add_f32_e32 v112, v130, v124
	v_fmamk_f32 v130, v53, 0xbeb58ec6, v111
	v_fmamk_f32 v90, v35, 0x3f116cb1, v98
	v_dual_add_f32 v124, v131, v129 :: v_dual_mul_f32 v131, 0xbf3f9e67, v32
	s_delay_alu instid0(VALU_DEP_2) | instskip(SKIP_2) | instid1(VALU_DEP_2)
	v_dual_mul_f32 v129, 0x3f62ad3f, v35 :: v_dual_add_f32 v84, v90, v84
	v_fmamk_f32 v90, v44, 0xbf788fa5, v104
	v_fmac_f32_e32 v125, 0xbf3f9e67, v30
	v_dual_fmac_f32 v119, 0xbf3f9e67, v34 :: v_dual_add_f32 v84, v90, v84
	v_fmamk_f32 v90, v49, 0x3f62ad3f, v109
	s_delay_alu instid0(VALU_DEP_1) | instskip(SKIP_1) | instid1(VALU_DEP_1)
	v_add_f32_e32 v84, v90, v84
	v_mul_f32_e32 v90, 0xbf3f9e67, v33
	v_add_f32_e32 v90, v92, v90
	v_mul_f32_e32 v92, 0xbeb58ec6, v30
	s_delay_alu instid0(VALU_DEP_1) | instskip(SKIP_2) | instid1(VALU_DEP_2)
	v_dual_add_f32 v82, v90, v82 :: v_dual_sub_f32 v79, v92, v79
	v_add_f32_e32 v90, v95, v129
	v_dual_mul_f32 v92, 0x3df6dbef, v44 :: v_dual_sub_f32 v95, v131, v85
	v_dual_add_f32 v79, v79, v4 :: v_dual_add_f32 v82, v90, v82
	s_delay_alu instid0(VALU_DEP_2) | instskip(NEXT) | instid1(VALU_DEP_2)
	v_add_f32_e32 v90, v101, v92
	v_dual_mul_f32 v92, 0xbf788fa5, v49 :: v_dual_add_f32 v79, v95, v79
	v_dual_fmac_f32 v117, 0x3f62ad3f, v32 :: v_dual_fmac_f32 v108, 0x3f62ad3f, v46
	s_delay_alu instid0(VALU_DEP_3) | instskip(NEXT) | instid1(VALU_DEP_3)
	v_add_f32_e32 v82, v90, v82
	v_add_f32_e32 v90, v105, v92
	v_mul_f32_e32 v92, 0xbf788fa5, v46
	v_fmac_f32_e32 v97, 0x3f116cb1, v34
	s_delay_alu instid0(VALU_DEP_3) | instskip(SKIP_1) | instid1(VALU_DEP_4)
	v_add_f32_e32 v82, v90, v82
	v_mul_f32_e32 v90, 0x3df6dbef, v31
	v_sub_f32_e32 v92, v92, v102
	s_delay_alu instid0(VALU_DEP_2) | instskip(NEXT) | instid1(VALU_DEP_1)
	v_dual_add_f32 v63, v63, v90 :: v_dual_mul_f32 v90, 0x3f116cb1, v52
	v_add_f32_e32 v63, v63, v5
	v_dual_add_f32 v85, v130, v84 :: v_dual_mul_f32 v84, 0x3f62ad3f, v34
	s_delay_alu instid0(VALU_DEP_3) | instskip(NEXT) | instid1(VALU_DEP_2)
	v_sub_f32_e32 v90, v90, v106
	v_dual_sub_f32 v84, v84, v91 :: v_dual_mul_f32 v91, 0x3df6dbef, v41
	s_delay_alu instid0(VALU_DEP_1) | instskip(NEXT) | instid1(VALU_DEP_2)
	v_add_f32_e32 v79, v84, v79
	v_sub_f32_e32 v91, v91, v99
	s_delay_alu instid0(VALU_DEP_1) | instskip(SKIP_1) | instid1(VALU_DEP_2)
	v_add_f32_e32 v79, v91, v79
	v_mul_f32_e32 v91, 0x3f116cb1, v53
	v_dual_mul_f32 v110, 0xbf6f5d39, v110 :: v_dual_add_f32 v79, v92, v79
	s_delay_alu instid0(VALU_DEP_2) | instskip(NEXT) | instid1(VALU_DEP_2)
	v_add_f32_e32 v91, v107, v91
	v_fma_f32 v95, 0xbeb58ec6, v52, -v110
	v_fmac_f32_e32 v110, 0xbeb58ec6, v52
	s_delay_alu instid0(VALU_DEP_4) | instskip(NEXT) | instid1(VALU_DEP_3)
	v_dual_add_f32 v90, v90, v79 :: v_dual_mul_f32 v79, 0x3f62ad3f, v44
	v_dual_add_f32 v84, v95, v124 :: v_dual_mul_f32 v95, 0xbf788fa5, v33
	s_delay_alu instid0(VALU_DEP_2) | instskip(NEXT) | instid1(VALU_DEP_2)
	v_add_f32_e32 v79, v86, v79
	v_add_f32_e32 v75, v75, v95
	v_mul_f32_e32 v95, 0xbeb58ec6, v35
	s_delay_alu instid0(VALU_DEP_2) | instskip(NEXT) | instid1(VALU_DEP_2)
	v_add_f32_e32 v63, v75, v63
	v_dual_add_f32 v80, v80, v95 :: v_dual_mul_f32 v75, 0xbf788fa5, v32
	s_delay_alu instid0(VALU_DEP_1) | instskip(SKIP_1) | instid1(VALU_DEP_2)
	v_dual_add_f32 v63, v80, v63 :: v_dual_sub_f32 v66, v75, v66
	v_mul_f32_e32 v75, 0xbeb58ec6, v34
	v_add_f32_e32 v63, v79, v63
	v_mul_f32_e32 v79, 0x3f62ad3f, v41
	s_delay_alu instid0(VALU_DEP_3) | instskip(SKIP_2) | instid1(VALU_DEP_4)
	v_dual_mul_f32 v92, 0x3df6dbef, v30 :: v_dual_sub_f32 v75, v75, v77
	v_mul_f32_e32 v77, 0x3f62ad3f, v31
	v_add_f32_e32 v91, v91, v82
	v_sub_f32_e32 v79, v79, v83
	s_delay_alu instid0(VALU_DEP_4) | instskip(SKIP_2) | instid1(VALU_DEP_3)
	v_sub_f32_e32 v59, v92, v59
	v_dual_mul_f32 v83, 0x3f116cb1, v31 :: v_dual_mul_f32 v82, 0x3f116cb1, v30
	v_add_f32_e32 v45, v45, v77
	v_add_f32_e32 v59, v59, v4
	s_delay_alu instid0(VALU_DEP_3) | instskip(SKIP_1) | instid1(VALU_DEP_4)
	v_dual_add_f32 v55, v55, v83 :: v_dual_sub_f32 v50, v82, v50
	v_mul_f32_e32 v82, 0xbf3f9e67, v41
	v_add_f32_e32 v45, v45, v5
	s_delay_alu instid0(VALU_DEP_4) | instskip(NEXT) | instid1(VALU_DEP_4)
	v_add_f32_e32 v59, v66, v59
	v_add_f32_e32 v55, v55, v5
	v_mul_f32_e32 v83, 0x3f116cb1, v33
	s_delay_alu instid0(VALU_DEP_3) | instskip(SKIP_1) | instid1(VALU_DEP_2)
	v_add_f32_e32 v59, v75, v59
	v_mul_f32_e32 v75, 0xbf3f9e67, v53
	v_dual_mul_f32 v66, 0x3f116cb1, v49 :: v_dual_add_f32 v59, v79, v59
	s_delay_alu instid0(VALU_DEP_1) | instskip(SKIP_1) | instid1(VALU_DEP_2)
	v_dual_add_f32 v75, v100, v75 :: v_dual_add_f32 v66, v94, v66
	v_mul_f32_e32 v79, 0xbeb58ec6, v33
	v_dual_mul_f32 v80, 0x3f62ad3f, v30 :: v_dual_add_f32 v63, v66, v63
	s_delay_alu instid0(VALU_DEP_2) | instskip(SKIP_1) | instid1(VALU_DEP_2)
	v_dual_add_f32 v60, v60, v79 :: v_dual_mul_f32 v79, 0xbeb58ec6, v32
	v_mul_f32_e32 v86, 0x3f116cb1, v46
	v_dual_mul_f32 v66, 0x3f116cb1, v32 :: v_dual_add_f32 v55, v60, v55
	s_delay_alu instid0(VALU_DEP_4) | instskip(NEXT) | instid1(VALU_DEP_3)
	v_add_f32_e32 v60, v75, v63
	v_sub_f32_e32 v86, v86, v88
	v_mul_f32_e32 v88, 0xbf3f9e67, v52
	v_dual_mul_f32 v63, 0xbf788fa5, v34 :: v_dual_sub_f32 v56, v79, v56
	v_mul_f32_e32 v79, 0xbf3f9e67, v49
	s_delay_alu instid0(VALU_DEP_4) | instskip(NEXT) | instid1(VALU_DEP_3)
	v_add_f32_e32 v59, v86, v59
	v_dual_mul_f32 v86, 0xbf788fa5, v35 :: v_dual_sub_f32 v61, v63, v61
	v_dual_mul_f32 v63, 0xbf788fa5, v53 :: v_dual_add_f32 v50, v50, v4
	v_dual_sub_f32 v88, v88, v96 :: v_dual_mul_f32 v75, 0xbeb58ec6, v41
	s_delay_alu instid0(VALU_DEP_3) | instskip(SKIP_1) | instid1(VALU_DEP_4)
	v_add_f32_e32 v68, v68, v86
	v_mul_f32_e32 v92, 0x3df6dbef, v34
	v_add_f32_e32 v50, v56, v50
	s_delay_alu instid0(VALU_DEP_4) | instskip(NEXT) | instid1(VALU_DEP_4)
	v_add_f32_e32 v59, v88, v59
	v_dual_add_f32 v55, v68, v55 :: v_dual_mul_f32 v86, 0xbf3f9e67, v44
	s_delay_alu instid0(VALU_DEP_3) | instskip(NEXT) | instid1(VALU_DEP_2)
	v_dual_add_f32 v50, v61, v50 :: v_dual_sub_f32 v61, v82, v67
	v_dual_add_f32 v67, v7, v5 :: v_dual_add_f32 v68, v76, v86
	v_mul_f32_e32 v76, 0xbeb58ec6, v44
	v_mul_f32_e32 v86, 0x3df6dbef, v49
	;; [unrolled: 1-line block ×3, first 2 shown]
	s_delay_alu instid0(VALU_DEP_4) | instskip(SKIP_1) | instid1(VALU_DEP_4)
	v_add_f32_e32 v25, v25, v67
	v_add_f32_e32 v55, v68, v55
	;; [unrolled: 1-line block ×3, first 2 shown]
	s_delay_alu instid0(VALU_DEP_3) | instskip(SKIP_1) | instid1(VALU_DEP_3)
	v_dual_mul_f32 v86, 0x3df6dbef, v46 :: v_dual_add_f32 v25, v27, v25
	v_add_f32_e32 v48, v48, v83
	v_dual_mul_f32 v56, 0xbf788fa5, v52 :: v_dual_add_f32 v55, v81, v55
	v_mul_f32_e32 v81, 0x3f62ad3f, v53
	s_delay_alu instid0(VALU_DEP_4) | instskip(NEXT) | instid1(VALU_DEP_4)
	v_dual_add_f32 v21, v21, v25 :: v_dual_mul_f32 v88, 0x3f62ad3f, v52
	v_dual_add_f32 v45, v48, v45 :: v_dual_add_f32 v6, v6, v4
	s_delay_alu instid0(VALU_DEP_3) | instskip(NEXT) | instid1(VALU_DEP_3)
	v_dual_mul_f32 v68, 0xbf3f9e67, v46 :: v_dual_add_f32 v81, v89, v81
	v_sub_f32_e32 v27, v88, v78
	s_delay_alu instid0(VALU_DEP_3) | instskip(NEXT) | instid1(VALU_DEP_3)
	v_dual_add_f32 v21, v23, v21 :: v_dual_add_f32 v6, v24, v6
	v_add_f32_e32 v7, v81, v55
	v_sub_f32_e32 v55, v86, v73
	s_delay_alu instid0(VALU_DEP_3) | instskip(NEXT) | instid1(VALU_DEP_4)
	v_add_f32_e32 v17, v17, v21
	v_dual_add_f32 v25, v26, v6 :: v_dual_add_f32 v26, v57, v76
	v_add_f32_e32 v48, v51, v94
	v_dual_add_f32 v50, v61, v50 :: v_dual_sub_f32 v21, v66, v43
	s_delay_alu instid0(VALU_DEP_3) | instskip(NEXT) | instid1(VALU_DEP_2)
	v_dual_add_f32 v20, v20, v25 :: v_dual_add_f32 v25, v62, v79
	v_dual_add_f32 v45, v48, v45 :: v_dual_add_f32 v24, v55, v50
	s_delay_alu instid0(VALU_DEP_2) | instskip(NEXT) | instid1(VALU_DEP_2)
	v_dual_add_f32 v17, v19, v17 :: v_dual_add_f32 v20, v22, v20
	v_dual_add_f32 v23, v26, v45 :: v_dual_add_f32 v6, v27, v24
	v_sub_f32_e32 v24, v80, v40
	s_delay_alu instid0(VALU_DEP_3) | instskip(NEXT) | instid1(VALU_DEP_4)
	v_add_f32_e32 v19, v16, v20
	v_add_f32_e32 v13, v13, v17
	s_delay_alu instid0(VALU_DEP_4) | instskip(NEXT) | instid1(VALU_DEP_4)
	v_add_f32_e32 v22, v25, v23
	v_dual_add_f32 v23, v74, v63 :: v_dual_add_f32 v24, v24, v4
	s_delay_alu instid0(VALU_DEP_4) | instskip(SKIP_1) | instid1(VALU_DEP_3)
	v_add_f32_e32 v17, v18, v19
	v_fma_f32 v18, 0xbf788fa5, v31, -v114
	v_add_f32_e32 v16, v23, v22
	s_delay_alu instid0(VALU_DEP_4) | instskip(NEXT) | instid1(VALU_DEP_1)
	v_dual_add_f32 v20, v21, v24 :: v_dual_sub_f32 v21, v92, v47
	v_dual_add_f32 v19, v21, v20 :: v_dual_sub_f32 v20, v75, v54
	v_add_f32_e32 v13, v15, v13
	v_add_f32_e32 v15, v18, v5
	;; [unrolled: 1-line block ×3, first 2 shown]
	v_fma_f32 v17, 0x3f62ad3f, v33, -v115
	s_delay_alu instid0(VALU_DEP_4) | instskip(NEXT) | instid1(VALU_DEP_2)
	v_dual_add_f32 v18, v20, v19 :: v_dual_add_f32 v9, v9, v13
	v_add_f32_e32 v13, v17, v15
	s_delay_alu instid0(VALU_DEP_4) | instskip(SKIP_1) | instid1(VALU_DEP_2)
	v_dual_sub_f32 v19, v68, v58 :: v_dual_add_f32 v12, v14, v12
	v_fma_f32 v14, 0xbf3f9e67, v35, -v118
	v_add_f32_e32 v8, v8, v12
	v_fma_f32 v12, 0x3f116cb1, v44, -v120
	v_add_f32_e32 v9, v11, v9
	s_delay_alu instid0(VALU_DEP_4) | instskip(NEXT) | instid1(VALU_DEP_4)
	v_add_f32_e32 v11, v14, v13
	v_dual_add_f32 v15, v19, v18 :: v_dual_add_f32 v8, v10, v8
	v_fma_f32 v13, 0xbf3f9e67, v31, -v87
	v_and_b32_e32 v14, 0xffff, v72
	s_delay_alu instid0(VALU_DEP_4)
	v_dual_add_f32 v10, v12, v11 :: v_dual_add_f32 v9, v29, v9
	v_add_f32_e32 v12, v116, v4
	v_add_f32_e32 v4, v125, v4
	v_fma_f32 v11, 0xbeb58ec6, v49, -v122
	v_sub_f32_e32 v17, v56, v65
	v_add_f32_e32 v8, v28, v8
	v_add_lshl_u32 v14, v42, v14, 3
	v_add_f32_e32 v4, v128, v4
	v_dual_add_f32 v10, v11, v10 :: v_dual_add_f32 v11, v117, v12
	v_fma_f32 v12, 0x3df6dbef, v33, -v93
	s_delay_alu instid0(VALU_DEP_3) | instskip(SKIP_4) | instid1(VALU_DEP_4)
	v_dual_fmac_f32 v123, 0x3f116cb1, v41 :: v_dual_add_f32 v4, v97, v4
	v_add_f32_e32 v5, v13, v5
	v_fma_f32 v13, 0x3df6dbef, v53, -v126
	v_add_f32_e32 v15, v17, v15
	v_fma_f32 v17, 0xbeb58ec6, v53, -v111
	v_dual_add_f32 v4, v103, v4 :: v_dual_add_f32 v5, v12, v5
	v_fma_f32 v12, 0x3f116cb1, v35, -v98
	s_delay_alu instid0(VALU_DEP_2) | instskip(NEXT) | instid1(VALU_DEP_2)
	v_add_f32_e32 v18, v108, v4
	v_add_f32_e32 v5, v12, v5
	v_fma_f32 v12, 0xbf788fa5, v44, -v104
	s_delay_alu instid0(VALU_DEP_1) | instskip(SKIP_1) | instid1(VALU_DEP_1)
	v_add_f32_e32 v5, v12, v5
	v_fma_f32 v12, 0x3f62ad3f, v49, -v109
	v_dual_add_f32 v12, v12, v5 :: v_dual_add_f32 v11, v119, v11
	v_add_f32_e32 v5, v13, v10
	s_delay_alu instid0(VALU_DEP_2) | instskip(NEXT) | instid1(VALU_DEP_1)
	v_dual_add_f32 v10, v110, v18 :: v_dual_add_f32 v11, v123, v11
	v_add_f32_e32 v11, v121, v11
	s_delay_alu instid0(VALU_DEP_1)
	v_dual_add_f32 v4, v127, v11 :: v_dual_add_f32 v11, v17, v12
	ds_store_2addr_b64 v14, v[8:9], v[15:16] offset1:1
	ds_store_2addr_b64 v14, v[6:7], v[59:60] offset0:2 offset1:3
	ds_store_2addr_b64 v14, v[90:91], v[84:85] offset0:4 offset1:5
	;; [unrolled: 1-line block ×5, first 2 shown]
	ds_store_b64 v14, v[2:3] offset:96
.LBB0_7:
	s_wait_alu 0xfffe
	s_or_b32 exec_lo, exec_lo, s0
	v_add_lshl_u32 v74, v42, v70, 3
	global_wb scope:SCOPE_SE
	s_wait_dscnt 0x0
	s_barrier_signal -1
	s_barrier_wait -1
	global_inv scope:SCOPE_SE
	v_add_nc_u32_e32 v4, 0x800, v74
	v_cmp_gt_u16_e64 s0, 26, v70
	ds_load_2addr_b64 v[24:27], v74 offset1:39
	ds_load_2addr_b64 v[12:15], v74 offset0:78 offset1:143
	ds_load_2addr_b64 v[28:31], v74 offset0:182 offset1:221
	;; [unrolled: 1-line block ×3, first 2 shown]
	ds_load_b64 v[40:41], v74 offset:2912
	s_and_saveexec_b32 s1, s0
	s_cbranch_execz .LBB0_9
; %bb.8:
	v_add_nc_u32_e32 v0, 0x200, v74
	ds_load_2addr_b64 v[4:7], v0 offset0:53 offset1:196
	ds_load_b64 v[0:1], v74 offset:3224
	s_wait_dscnt 0x1
	v_dual_mov_b32 v37, v5 :: v_dual_mov_b32 v36, v4
	v_dual_mov_b32 v39, v7 :: v_dual_mov_b32 v38, v6
.LBB0_9:
	s_wait_alu 0xfffe
	s_or_b32 exec_lo, exec_lo, s1
	v_and_b32_e32 v4, 0xff, v70
	v_add_nc_u16 v5, v70, 39
	v_add_nc_u16 v6, v70, 0x4e
	s_delay_alu instid0(VALU_DEP_3) | instskip(NEXT) | instid1(VALU_DEP_3)
	v_mul_lo_u16 v4, 0x4f, v4
	v_and_b32_e32 v7, 0xff, v5
	s_delay_alu instid0(VALU_DEP_3) | instskip(NEXT) | instid1(VALU_DEP_3)
	v_and_b32_e32 v8, 0xff, v6
	v_lshrrev_b16 v43, 10, v4
	s_delay_alu instid0(VALU_DEP_3) | instskip(NEXT) | instid1(VALU_DEP_3)
	v_mul_lo_u16 v7, 0x4f, v7
	v_mul_lo_u16 v8, 0x4f, v8
	v_add_nc_u16 v4, v70, 0x75
	s_delay_alu instid0(VALU_DEP_4) | instskip(NEXT) | instid1(VALU_DEP_4)
	v_mul_lo_u16 v9, v43, 13
	v_lshrrev_b16 v44, 10, v7
	s_delay_alu instid0(VALU_DEP_4) | instskip(NEXT) | instid1(VALU_DEP_3)
	v_lshrrev_b16 v45, 10, v8
	v_sub_nc_u16 v7, v70, v9
	s_delay_alu instid0(VALU_DEP_3) | instskip(SKIP_1) | instid1(VALU_DEP_3)
	v_mul_lo_u16 v8, v44, 13
	v_and_b32_e32 v44, 0xffff, v44
	v_and_b32_e32 v46, 0xff, v7
	s_delay_alu instid0(VALU_DEP_3) | instskip(SKIP_4) | instid1(VALU_DEP_4)
	v_sub_nc_u16 v5, v5, v8
	v_mul_lo_u16 v7, v45, 13
	v_and_b32_e32 v45, 0xffff, v45
	v_mul_u32_u24_e32 v44, 39, v44
	v_lshlrev_b32_e32 v8, 4, v46
	v_sub_nc_u16 v6, v6, v7
	s_delay_alu instid0(VALU_DEP_4) | instskip(SKIP_2) | instid1(VALU_DEP_1)
	v_mul_u32_u24_e32 v45, 39, v45
	global_load_b128 v[20:23], v8, s[2:3]
	v_and_b32_e32 v48, 0xff, v5
	v_lshlrev_b32_e32 v5, 4, v48
	global_load_b128 v[16:19], v5, s[2:3]
	v_and_b32_e32 v10, 0xff, v4
	v_and_b32_e32 v43, 0xffff, v43
	;; [unrolled: 1-line block ×3, first 2 shown]
	s_delay_alu instid0(VALU_DEP_3) | instskip(NEXT) | instid1(VALU_DEP_3)
	v_mul_lo_u16 v9, 0x4f, v10
	v_mul_u32_u24_e32 v43, 39, v43
	s_delay_alu instid0(VALU_DEP_2) | instskip(NEXT) | instid1(VALU_DEP_2)
	v_lshrrev_b16 v47, 10, v9
	v_add_nc_u32_e32 v43, v43, v46
	s_delay_alu instid0(VALU_DEP_2) | instskip(SKIP_1) | instid1(VALU_DEP_3)
	v_mul_lo_u16 v9, v47, 13
	v_and_b32_e32 v76, 0xffff, v47
	v_add_lshl_u32 v79, v42, v43, 3
	s_delay_alu instid0(VALU_DEP_3) | instskip(NEXT) | instid1(VALU_DEP_1)
	v_sub_nc_u16 v4, v4, v9
	v_and_b32_e32 v75, 0xff, v4
	s_wait_loadcnt_dscnt 0x101
	v_mul_f32_e32 v47, v32, v23
	v_mul_f32_e32 v46, v33, v23
	s_delay_alu instid0(VALU_DEP_2)
	v_fmac_f32_e32 v47, v33, v22
	v_add_nc_u32_e32 v43, v44, v48
	v_add_nc_u32_e32 v44, v45, v49
	v_mul_f32_e32 v45, v14, v21
	v_fma_f32 v32, v32, v22, -v46
	s_wait_loadcnt 0x0
	v_mul_f32_e32 v48, v34, v19
	v_add_lshl_u32 v77, v42, v44, 3
	v_mul_f32_e32 v44, v28, v17
	v_lshlrev_b32_e32 v4, 4, v49
	v_lshlrev_b32_e32 v5, 4, v75
	s_clause 0x1
	global_load_b128 v[8:11], v4, s[2:3]
	global_load_b128 v[4:7], v5, s[2:3]
	v_fmac_f32_e32 v48, v35, v18
	v_add_lshl_u32 v78, v42, v43, 3
	v_mul_f32_e32 v43, v15, v21
	v_fmac_f32_e32 v45, v15, v20
	v_dual_mul_f32 v33, v29, v17 :: v_dual_mul_f32 v46, v35, v19
	v_fmac_f32_e32 v44, v29, v16
	s_delay_alu instid0(VALU_DEP_4) | instskip(SKIP_1) | instid1(VALU_DEP_3)
	v_fma_f32 v43, v14, v20, -v43
	s_load_b128 s[4:7], s[4:5], 0x0
	v_fma_f32 v55, v28, v16, -v33
	v_fma_f32 v46, v34, v18, -v46
	v_add_f32_e32 v35, v45, v47
	global_wb scope:SCOPE_SE
	s_wait_loadcnt_dscnt 0x0
	s_wait_kmcnt 0x0
	s_barrier_signal -1
	s_barrier_wait -1
	global_inv scope:SCOPE_SE
	v_add_f32_e32 v33, v25, v45
	s_delay_alu instid0(VALU_DEP_1)
	v_add_f32_e32 v33, v33, v47
	v_mul_f32_e32 v49, v31, v9
	v_dual_mul_f32 v50, v30, v9 :: v_dual_mul_f32 v51, v41, v11
	v_dual_mul_f32 v53, v39, v5 :: v_dual_mul_f32 v54, v1, v7
	;; [unrolled: 1-line block ×3, first 2 shown]
	v_mul_f32_e32 v14, v0, v7
	v_fma_f32 v30, v30, v8, -v49
	v_fmac_f32_e32 v50, v31, v8
	v_fma_f32 v31, v40, v10, -v51
	v_fma_f32 v29, v38, v4, -v53
	v_fma_f32 v28, v0, v6, -v54
	v_add_f32_e32 v0, v24, v43
	v_dual_fmac_f32 v52, v41, v10 :: v_dual_fmac_f32 v15, v39, v4
	v_dual_fmac_f32 v14, v1, v6 :: v_dual_add_f32 v1, v43, v32
	v_sub_f32_e32 v39, v45, v47
	v_sub_f32_e32 v47, v44, v48
	;; [unrolled: 1-line block ×3, first 2 shown]
	v_add_f32_e32 v32, v0, v32
	v_add_f32_e32 v41, v27, v44
	v_dual_add_f32 v43, v44, v48 :: v_dual_sub_f32 v54, v30, v31
	v_dual_add_f32 v44, v12, v30 :: v_dual_add_f32 v45, v30, v31
	v_add_f32_e32 v30, v29, v28
	v_fma_f32 v34, -0.5, v1, v24
	v_fma_f32 v35, -0.5, v35, v25
	v_dual_add_f32 v0, v26, v55 :: v_dual_add_f32 v1, v55, v46
	v_sub_f32_e32 v49, v55, v46
	v_dual_sub_f32 v51, v50, v52 :: v_dual_sub_f32 v24, v15, v14
	v_add_f32_e32 v55, v15, v14
	v_fma_f32 v30, -0.5, v30, v36
	v_dual_add_f32 v53, v13, v50 :: v_dual_fmamk_f32 v38, v39, 0x3f5db3d7, v34
	v_add_f32_e32 v50, v50, v52
	v_dual_sub_f32 v25, v29, v28 :: v_dual_fmac_f32 v34, 0xbf5db3d7, v39
	v_fmamk_f32 v39, v40, 0xbf5db3d7, v35
	v_dual_fmac_f32 v35, 0x3f5db3d7, v40 :: v_dual_add_f32 v40, v0, v46
	v_dual_fmac_f32 v27, -0.5, v43 :: v_dual_fmamk_f32 v0, v24, 0xbf5db3d7, v30
	v_add_f32_e32 v43, v44, v31
	v_fma_f32 v31, -0.5, v55, v37
	v_fma_f32 v26, -0.5, v1, v26
	s_delay_alu instid0(VALU_DEP_4)
	v_fmamk_f32 v46, v49, 0xbf5db3d7, v27
	v_fma_f32 v12, -0.5, v45, v12
	v_fmac_f32_e32 v13, -0.5, v50
	v_fmamk_f32 v1, v25, 0x3f5db3d7, v31
	v_add_f32_e32 v41, v41, v48
	v_fmamk_f32 v45, v47, 0x3f5db3d7, v26
	v_fmac_f32_e32 v26, 0xbf5db3d7, v47
	v_dual_fmac_f32 v27, 0x3f5db3d7, v49 :: v_dual_add_f32 v44, v53, v52
	v_fmamk_f32 v47, v51, 0x3f5db3d7, v12
	v_fmac_f32_e32 v12, 0xbf5db3d7, v51
	v_fmamk_f32 v48, v54, 0xbf5db3d7, v13
	v_fmac_f32_e32 v13, 0x3f5db3d7, v54
	ds_store_2addr_b64 v79, v[32:33], v[38:39] offset1:13
	ds_store_b64 v79, v[34:35] offset:208
	ds_store_2addr_b64 v78, v[40:41], v[45:46] offset1:13
	ds_store_b64 v78, v[26:27] offset:208
	;; [unrolled: 2-line block ×3, first 2 shown]
	s_and_saveexec_b32 s1, s0
	s_cbranch_execz .LBB0_11
; %bb.10:
	v_mul_u32_u24_e32 v12, 39, v76
	v_dual_mul_f32 v13, 0x3f5db3d7, v25 :: v_dual_mul_f32 v24, 0x3f5db3d7, v24
	v_add_f32_e32 v15, v37, v15
	v_add_f32_e32 v25, v36, v29
	s_delay_alu instid0(VALU_DEP_3) | instskip(NEXT) | instid1(VALU_DEP_4)
	v_dual_sub_f32 v13, v31, v13 :: v_dual_add_nc_u32 v26, v12, v75
	v_add_f32_e32 v12, v24, v30
	s_delay_alu instid0(VALU_DEP_3) | instskip(NEXT) | instid1(VALU_DEP_3)
	v_dual_add_f32 v15, v15, v14 :: v_dual_add_f32 v14, v25, v28
	v_add_lshl_u32 v24, v42, v26, 3
	ds_store_2addr_b64 v24, v[14:15], v[12:13] offset1:13
	ds_store_b64 v24, v[0:1] offset:208
.LBB0_11:
	s_wait_alu 0xfffe
	s_or_b32 exec_lo, exec_lo, s1
	v_mad_co_u64_u32 v[28:29], null, 0x50, v70, s[2:3]
	global_wb scope:SCOPE_SE
	s_wait_dscnt 0x0
	s_barrier_signal -1
	s_barrier_wait -1
	global_inv scope:SCOPE_SE
	v_lshl_add_u32 v73, v70, 3, v71
	s_clause 0x4
	global_load_b128 v[36:39], v[28:29], off offset:208
	global_load_b128 v[32:35], v[28:29], off offset:224
	;; [unrolled: 1-line block ×5, first 2 shown]
	ds_load_2addr_b64 v[40:43], v74 offset1:39
	ds_load_b64 v[61:62], v74 offset:624
	ds_load_2addr_b64 v[44:47], v74 offset0:117 offset1:156
	v_add_nc_u32_e32 v56, 0x800, v74
	s_wait_loadcnt_dscnt 0x401
	v_dual_mul_f32 v67, v61, v39 :: v_dual_add_nc_u32 v60, 0x800, v73
	v_mul_f32_e32 v63, v43, v37
	ds_load_2addr_b64 v[48:51], v74 offset0:195 offset1:234
	ds_load_2addr_b64 v[52:55], v56 offset0:17 offset1:56
	;; [unrolled: 1-line block ×3, first 2 shown]
	s_wait_loadcnt_dscnt 0x303
	v_mul_f32_e32 v80, v44, v33
	v_mul_f32_e32 v66, v62, v39
	v_dual_mul_f32 v68, v45, v33 :: v_dual_mul_f32 v81, v47, v35
	v_mul_f32_e32 v82, v46, v35
	v_fmac_f32_e32 v67, v62, v38
	s_delay_alu instid0(VALU_DEP_3)
	v_fma_f32 v44, v44, v32, -v68
	s_wait_loadcnt_dscnt 0x202
	v_mul_f32_e32 v83, v49, v25
	s_wait_loadcnt_dscnt 0x101
	v_mul_f32_e32 v87, v53, v13
	v_mul_f32_e32 v85, v51, v27
	v_dual_mul_f32 v65, v42, v37 :: v_dual_fmac_f32 v80, v45, v32
	v_mul_f32_e32 v90, v54, v15
	v_dual_mul_f32 v84, v48, v25 :: v_dual_mul_f32 v89, v55, v15
	s_wait_loadcnt_dscnt 0x0
	s_delay_alu instid0(VALU_DEP_3)
	v_dual_mul_f32 v92, v56, v29 :: v_dual_fmac_f32 v65, v43, v36
	v_fma_f32 v45, v46, v34, -v81
	v_fma_f32 v46, v48, v24, -v83
	v_fma_f32 v48, v52, v12, -v87
	v_fmac_f32_e32 v90, v55, v14
	v_dual_mul_f32 v86, v50, v27 :: v_dual_mul_f32 v91, v57, v29
	v_dual_mul_f32 v88, v52, v13 :: v_dual_mul_f32 v93, v59, v31
	v_fma_f32 v42, v42, v36, -v63
	v_sub_f32_e32 v83, v45, v48
	v_dual_fmac_f32 v92, v57, v28 :: v_dual_add_f32 v63, v80, v90
	v_mul_f32_e32 v94, v58, v31
	v_fma_f32 v43, v61, v38, -v66
	v_fmac_f32_e32 v88, v53, v12
	v_fmac_f32_e32 v86, v51, v26
	v_fma_f32 v51, v56, v28, -v91
	v_fmac_f32_e32 v84, v49, v24
	v_fma_f32 v49, v54, v14, -v89
	;; [unrolled: 2-line block ×3, first 2 shown]
	v_sub_f32_e32 v61, v67, v92
	v_fmac_f32_e32 v94, v59, v30
	v_fma_f32 v47, v50, v26, -v85
	v_add_f32_e32 v50, v40, v42
	v_dual_add_f32 v54, v42, v53 :: v_dual_add_f32 v57, v43, v51
	s_delay_alu instid0(VALU_DEP_4)
	v_add_f32_e32 v55, v65, v94
	v_add_f32_e32 v52, v41, v65
	v_dual_sub_f32 v56, v65, v94 :: v_dual_sub_f32 v91, v46, v47
	v_sub_f32_e32 v59, v43, v51
	v_sub_f32_e32 v65, v44, v49
	v_add_f32_e32 v81, v82, v88
	v_dual_sub_f32 v42, v42, v53 :: v_dual_sub_f32 v93, v84, v86
	v_dual_sub_f32 v66, v80, v90 :: v_dual_mul_f32 v95, 0xbf68dda4, v56
	v_dual_add_f32 v87, v46, v47 :: v_dual_add_f32 v58, v67, v92
	s_delay_alu instid0(VALU_DEP_3)
	v_dual_add_f32 v43, v50, v43 :: v_dual_mul_f32 v96, 0xbf68dda4, v42
	v_add_f32_e32 v62, v44, v49
	v_dual_add_f32 v68, v45, v48 :: v_dual_mul_f32 v101, 0xbf68dda4, v61
	v_add_f32_e32 v89, v84, v86
	v_dual_add_f32 v50, v52, v67 :: v_dual_mul_f32 v97, 0xbf7d64f0, v56
	v_dual_mul_f32 v52, 0xbf0a6770, v56 :: v_dual_mul_f32 v115, 0xbf0a6770, v66
	v_mul_f32_e32 v67, 0xbf0a6770, v42
	v_dual_mul_f32 v103, 0xbf4178ce, v61 :: v_dual_mul_f32 v104, 0xbf4178ce, v59
	v_dual_mul_f32 v105, 0x3e903f40, v61 :: v_dual_mul_f32 v106, 0x3e903f40, v59
	;; [unrolled: 1-line block ×4, first 2 shown]
	v_add_f32_e32 v43, v43, v44
	v_fma_f32 v133, 0x3ed4b147, v54, -v95
	v_dual_fmamk_f32 v134, v55, 0x3ed4b147, v96 :: v_dual_fmac_f32 v95, 0x3ed4b147, v54
	v_dual_sub_f32 v85, v82, v88 :: v_dual_mul_f32 v98, 0xbf7d64f0, v42
	v_dual_mul_f32 v99, 0xbf4178ce, v56 :: v_dual_mul_f32 v100, 0xbf4178ce, v42
	s_delay_alu instid0(VALU_DEP_2)
	v_dual_mul_f32 v56, 0xbe903f40, v56 :: v_dual_mul_f32 v123, 0xbe903f40, v85
	v_dual_mul_f32 v42, 0xbe903f40, v42 :: v_dual_mul_f32 v125, 0xbe903f40, v93
	v_mul_f32_e32 v102, 0xbf68dda4, v59
	v_dual_mul_f32 v59, 0x3f0a6770, v59 :: v_dual_add_f32 v44, v50, v80
	v_dual_mul_f32 v129, 0xbf4178ce, v93 :: v_dual_mul_f32 v130, 0xbf4178ce, v91
	v_fma_f32 v50, 0x3f575c64, v54, -v52
	v_dual_fmamk_f32 v80, v55, 0x3f575c64, v67 :: v_dual_add_f32 v95, v40, v95
	v_mul_f32_e32 v127, 0x3f0a6770, v93
	v_fmac_f32_e32 v52, 0x3f575c64, v54
	v_fma_f32 v147, 0x3f575c64, v57, -v61
	v_fmac_f32_e32 v61, 0x3f575c64, v57
	v_mul_f32_e32 v131, 0x3f68dda4, v93
	s_delay_alu instid0(VALU_DEP_4)
	v_dual_mul_f32 v93, 0xbf7d64f0, v93 :: v_dual_add_f32 v52, v40, v52
	v_dual_mul_f32 v109, 0xbf7d64f0, v66 :: v_dual_mul_f32 v110, 0xbf7d64f0, v65
	v_dual_mul_f32 v111, 0x3e903f40, v66 :: v_dual_mul_f32 v112, 0x3e903f40, v65
	;; [unrolled: 1-line block ×4, first 2 shown]
	v_mul_f32_e32 v118, 0xbf4178ce, v83
	v_dual_mul_f32 v119, 0x3f7d64f0, v85 :: v_dual_mul_f32 v120, 0x3f7d64f0, v83
	v_dual_mul_f32 v121, 0xbf0a6770, v85 :: v_dual_mul_f32 v122, 0xbf0a6770, v83
	v_mul_f32_e32 v124, 0xbe903f40, v83
	v_dual_mul_f32 v85, 0x3f68dda4, v85 :: v_dual_mul_f32 v132, 0x3f68dda4, v91
	v_dual_mul_f32 v83, 0x3f68dda4, v83 :: v_dual_add_f32 v50, v40, v50
	v_fma_f32 v67, 0x3f575c64, v55, -v67
	v_mul_f32_e32 v116, 0xbf0a6770, v65
	v_mul_f32_e32 v65, 0xbf4178ce, v65
	v_fma_f32 v96, 0x3ed4b147, v55, -v96
	v_fma_f32 v135, 0xbe11bafb, v54, -v97
	v_dual_add_f32 v67, v41, v67 :: v_dual_fmamk_f32 v136, v55, 0xbe11bafb, v98
	v_fmac_f32_e32 v97, 0xbe11bafb, v54
	v_mul_f32_e32 v126, 0xbe903f40, v91
	v_dual_mul_f32 v91, 0xbf7d64f0, v91 :: v_dual_add_f32 v96, v41, v96
	v_fma_f32 v98, 0xbe11bafb, v55, -v98
	v_fma_f32 v137, 0xbf27a4f4, v54, -v99
	v_dual_fmamk_f32 v138, v55, 0xbf27a4f4, v100 :: v_dual_fmac_f32 v99, 0xbf27a4f4, v54
	v_fma_f32 v100, 0xbf27a4f4, v55, -v100
	v_fma_f32 v139, 0xbf75a155, v54, -v56
	v_fmamk_f32 v140, v55, 0xbf75a155, v42
	v_fmac_f32_e32 v56, 0xbf75a155, v54
	v_fma_f32 v42, 0xbf75a155, v55, -v42
	v_fma_f32 v54, 0x3ed4b147, v57, -v101
	;; [unrolled: 1-line block ×3, first 2 shown]
	v_dual_fmac_f32 v93, 0xbe11bafb, v87 :: v_dual_add_f32 v44, v44, v82
	v_add_f32_e32 v43, v43, v45
	v_dual_fmamk_f32 v55, v58, 0x3ed4b147, v102 :: v_dual_fmamk_f32 v164, v81, 0x3ed4b147, v83
	v_dual_fmac_f32 v101, 0x3ed4b147, v57 :: v_dual_fmamk_f32 v152, v63, 0x3ed4b147, v114
	v_fma_f32 v102, 0x3ed4b147, v58, -v102
	v_fma_f32 v141, 0xbf27a4f4, v57, -v103
	v_dual_fmamk_f32 v142, v58, 0xbf27a4f4, v104 :: v_dual_fmac_f32 v103, 0xbf27a4f4, v57
	v_fma_f32 v104, 0xbf27a4f4, v58, -v104
	v_fma_f32 v143, 0xbf75a155, v57, -v105
	v_dual_fmamk_f32 v144, v58, 0xbf75a155, v106 :: v_dual_fmac_f32 v105, 0xbf75a155, v57
	;; [unrolled: 3-line block ×3, first 2 shown]
	v_fma_f32 v108, 0xbe11bafb, v58, -v108
	v_dual_fmamk_f32 v148, v58, 0x3f575c64, v59 :: v_dual_add_f32 v97, v40, v97
	v_fma_f32 v57, 0x3f575c64, v58, -v59
	v_fma_f32 v58, 0xbe11bafb, v62, -v109
	v_fmamk_f32 v59, v63, 0xbe11bafb, v110
	v_dual_fmac_f32 v109, 0xbe11bafb, v62 :: v_dual_fmamk_f32 v158, v81, 0xbe11bafb, v120
	v_fma_f32 v110, 0xbe11bafb, v63, -v110
	v_fma_f32 v149, 0xbf75a155, v62, -v111
	v_dual_fmamk_f32 v150, v63, 0xbf75a155, v112 :: v_dual_fmac_f32 v111, 0xbf75a155, v62
	v_fma_f32 v112, 0xbf75a155, v63, -v112
	v_fma_f32 v151, 0x3ed4b147, v62, -v113
	v_dual_fmac_f32 v113, 0x3ed4b147, v62 :: v_dual_fmamk_f32 v170, v89, 0x3ed4b147, v132
	v_fma_f32 v114, 0x3ed4b147, v63, -v114
	v_fma_f32 v153, 0x3f575c64, v62, -v115
	v_dual_fmamk_f32 v154, v63, 0x3f575c64, v116 :: v_dual_fmac_f32 v115, 0x3f575c64, v62
	v_fma_f32 v116, 0x3f575c64, v63, -v116
	v_fma_f32 v155, 0xbf27a4f4, v62, -v66
	v_fmamk_f32 v156, v63, 0xbf27a4f4, v65
	v_fmac_f32_e32 v66, 0xbf27a4f4, v62
	v_fma_f32 v62, 0xbf27a4f4, v63, -v65
	v_fma_f32 v63, 0xbf27a4f4, v68, -v117
	v_fmac_f32_e32 v117, 0xbf27a4f4, v68
	v_fmamk_f32 v65, v81, 0xbf27a4f4, v118
	v_fma_f32 v118, 0xbf27a4f4, v81, -v118
	v_fma_f32 v157, 0xbe11bafb, v68, -v119
	v_dual_fmac_f32 v119, 0xbe11bafb, v68 :: v_dual_add_f32 v98, v41, v98
	v_fma_f32 v120, 0xbe11bafb, v81, -v120
	v_fma_f32 v159, 0x3f575c64, v68, -v121
	v_dual_fmamk_f32 v160, v81, 0x3f575c64, v122 :: v_dual_fmac_f32 v121, 0x3f575c64, v68
	v_fma_f32 v122, 0x3f575c64, v81, -v122
	v_fma_f32 v161, 0xbf75a155, v68, -v123
	v_dual_fmamk_f32 v162, v81, 0xbf75a155, v124 :: v_dual_add_f32 v99, v40, v99
	v_fmac_f32_e32 v123, 0xbf75a155, v68
	v_fma_f32 v124, 0xbf75a155, v81, -v124
	v_fma_f32 v163, 0x3ed4b147, v68, -v85
	v_fmac_f32_e32 v85, 0x3ed4b147, v68
	v_fma_f32 v68, 0x3ed4b147, v81, -v83
	v_fma_f32 v81, 0xbf75a155, v87, -v125
	v_fmamk_f32 v83, v89, 0xbf75a155, v126
	v_fmac_f32_e32 v125, 0xbf75a155, v87
	v_fma_f32 v126, 0xbf75a155, v89, -v126
	v_fma_f32 v167, 0xbf27a4f4, v87, -v129
	v_dual_fmamk_f32 v168, v89, 0xbf27a4f4, v130 :: v_dual_fmac_f32 v129, 0xbf27a4f4, v87
	v_fma_f32 v130, 0xbf27a4f4, v89, -v130
	v_fma_f32 v169, 0x3ed4b147, v87, -v131
	v_dual_fmac_f32 v131, 0x3ed4b147, v87 :: v_dual_add_f32 v100, v41, v100
	v_fma_f32 v132, 0x3ed4b147, v89, -v132
	v_add_f32_e32 v80, v41, v80
	v_fma_f32 v165, 0x3f575c64, v87, -v127
	v_dual_fmamk_f32 v166, v89, 0x3f575c64, v128 :: v_dual_fmac_f32 v127, 0x3f575c64, v87
	v_fma_f32 v128, 0x3f575c64, v89, -v128
	v_fmamk_f32 v87, v89, 0xbe11bafb, v91
	v_fma_f32 v89, 0xbe11bafb, v89, -v91
	v_add_f32_e32 v91, v40, v133
	v_dual_add_f32 v133, v41, v134 :: v_dual_add_f32 v134, v40, v135
	v_dual_add_f32 v135, v41, v136 :: v_dual_add_f32 v136, v40, v137
	;; [unrolled: 1-line block ×3, first 2 shown]
	v_add_f32_e32 v45, v41, v140
	v_add_f32_e32 v41, v41, v42
	v_dual_add_f32 v42, v43, v46 :: v_dual_add_f32 v43, v44, v84
	v_add_f32_e32 v40, v40, v56
	v_add_f32_e32 v44, v54, v50
	;; [unrolled: 1-line block ×4, first 2 shown]
	v_dual_add_f32 v50, v101, v52 :: v_dual_add_f32 v55, v142, v133
	v_add_f32_e32 v52, v102, v67
	v_dual_add_f32 v56, v103, v95 :: v_dual_add_f32 v67, v104, v96
	v_dual_add_f32 v80, v143, v134 :: v_dual_add_f32 v95, v145, v136
	;; [unrolled: 1-line block ×10, first 2 shown]
	v_add_f32_e32 v50, v110, v52
	v_add_f32_e32 v52, v149, v54
	v_dual_add_f32 v54, v150, v55 :: v_dual_add_f32 v57, v151, v80
	v_dual_add_f32 v55, v111, v56 :: v_dual_add_f32 v56, v112, v67
	;; [unrolled: 1-line block ×3, first 2 shown]
	v_add_f32_e32 v61, v114, v91
	v_dual_add_f32 v67, v153, v95 :: v_dual_add_f32 v80, v154, v96
	v_add_f32_e32 v45, v156, v45
	v_dual_add_f32 v82, v115, v97 :: v_dual_add_f32 v47, v117, v47
	v_dual_add_f32 v84, v116, v98 :: v_dual_add_f32 v43, v43, v88
	v_add_f32_e32 v86, v155, v99
	v_add_f32_e32 v42, v42, v48
	;; [unrolled: 1-line block ×3, first 2 shown]
	v_dual_add_f32 v44, v63, v44 :: v_dual_add_f32 v61, v122, v61
	v_add_f32_e32 v46, v65, v46
	v_dual_add_f32 v48, v118, v50 :: v_dual_add_f32 v45, v164, v45
	v_add_f32_e32 v63, v160, v58
	v_add_f32_e32 v65, v121, v59
	v_dual_add_f32 v66, v161, v67 :: v_dual_add_f32 v67, v162, v80
	v_add_f32_e32 v50, v157, v52
	v_dual_add_f32 v52, v158, v54 :: v_dual_add_f32 v85, v85, v40
	v_dual_add_f32 v54, v119, v55 :: v_dual_add_f32 v55, v120, v56
	v_add_f32_e32 v80, v123, v82
	v_add_f32_e32 v82, v124, v84
	;; [unrolled: 1-line block ×5, first 2 shown]
	v_dual_add_f32 v62, v159, v57 :: v_dual_add_f32 v59, v166, v52
	v_dual_add_f32 v68, v68, v41 :: v_dual_add_f32 v43, v126, v48
	;; [unrolled: 1-line block ×3, first 2 shown]
	s_delay_alu instid0(VALU_DEP_4)
	v_dual_add_f32 v55, v88, v92 :: v_dual_add_f32 v54, v86, v51
	v_dual_add_f32 v56, v81, v44 :: v_dual_add_f32 v57, v83, v46
	v_add_f32_e32 v58, v165, v50
	v_dual_add_f32 v48, v167, v62 :: v_dual_add_f32 v49, v168, v63
	v_dual_add_f32 v46, v129, v65 :: v_dual_add_f32 v51, v170, v67
	;; [unrolled: 1-line block ×3, first 2 shown]
	v_add_f32_e32 v50, v169, v66
	v_add_f32_e32 v44, v131, v80
	v_dual_add_f32 v52, v171, v84 :: v_dual_add_f32 v65, v54, v53
	v_add_f32_e32 v66, v55, v94
	v_add_f32_e32 v53, v87, v45
	v_dual_add_f32 v45, v132, v82 :: v_dual_add_f32 v54, v93, v85
	v_add_f32_e32 v55, v89, v68
	ds_store_b64 v73, v[65:66]
	ds_store_2addr_b64 v73, v[56:57], v[58:59] offset0:39 offset1:78
	ds_store_2addr_b64 v73, v[48:49], v[50:51] offset0:117 offset1:156
	;; [unrolled: 1-line block ×5, first 2 shown]
	global_wb scope:SCOPE_SE
	s_wait_dscnt 0x0
	s_barrier_signal -1
	s_barrier_wait -1
	global_inv scope:SCOPE_SE
	s_and_saveexec_b32 s1, vcc_lo
	s_cbranch_execz .LBB0_13
; %bb.12:
	global_load_b64 v[61:62], v69, s[8:9] offset:3432
	s_add_nc_u64 s[2:3], s[8:9], 0xd68
	s_clause 0xb
	global_load_b64 v[67:68], v69, s[2:3] offset:264
	global_load_b64 v[104:105], v69, s[2:3] offset:528
	;; [unrolled: 1-line block ×12, first 2 shown]
	ds_load_b64 v[80:81], v73
	s_wait_loadcnt_dscnt 0xc00
	v_mul_f32_e32 v82, v81, v62
	v_mul_f32_e32 v63, v80, v62
	s_delay_alu instid0(VALU_DEP_2) | instskip(NEXT) | instid1(VALU_DEP_2)
	v_fma_f32 v62, v80, v61, -v82
	v_fmac_f32_e32 v63, v81, v61
	ds_store_b64 v73, v[62:63]
	ds_load_2addr_b64 v[80:83], v73 offset0:33 offset1:66
	ds_load_2addr_b64 v[84:87], v73 offset0:99 offset1:132
	v_add_nc_u32_e32 v63, 0x400, v73
	ds_load_2addr_b64 v[88:91], v73 offset0:165 offset1:198
	ds_load_2addr_b64 v[92:95], v63 offset0:103 offset1:136
	;; [unrolled: 1-line block ×4, first 2 shown]
	s_wait_loadcnt_dscnt 0xb05
	v_mul_f32_e32 v62, v80, v68
	s_wait_loadcnt 0xa
	v_dual_mul_f32 v61, v81, v68 :: v_dual_mul_f32 v68, v82, v105
	s_wait_loadcnt_dscnt 0x904
	v_dual_mul_f32 v126, v83, v105 :: v_dual_mul_f32 v127, v85, v107
	s_wait_loadcnt 0x8
	v_dual_mul_f32 v128, v87, v109 :: v_dual_mul_f32 v105, v84, v107
	s_wait_loadcnt_dscnt 0x603
	v_mul_f32_e32 v130, v91, v113
	v_dual_mul_f32 v107, v86, v109 :: v_dual_fmac_f32 v62, v81, v67
	s_wait_loadcnt_dscnt 0x402
	v_dual_mul_f32 v129, v89, v111 :: v_dual_mul_f32 v132, v95, v117
	s_wait_loadcnt_dscnt 0x201
	v_dual_mul_f32 v109, v88, v111 :: v_dual_mul_f32 v134, v99, v121
	v_dual_mul_f32 v111, v90, v113 :: v_dual_fmac_f32 v68, v83, v104
	s_wait_loadcnt_dscnt 0x0
	v_dual_mul_f32 v131, v93, v115 :: v_dual_mul_f32 v136, v103, v125
	v_mul_f32_e32 v113, v92, v115
	v_mul_f32_e32 v115, v94, v117
	;; [unrolled: 1-line block ×8, first 2 shown]
	v_fma_f32 v61, v80, v67, -v61
	v_fma_f32 v67, v82, v104, -v126
	;; [unrolled: 1-line block ×3, first 2 shown]
	v_fmac_f32_e32 v105, v85, v106
	v_fma_f32 v106, v86, v108, -v128
	v_fmac_f32_e32 v107, v87, v108
	v_fma_f32 v108, v88, v110, -v129
	v_fmac_f32_e32 v109, v89, v110
	v_fma_f32 v110, v90, v112, -v130
	v_fmac_f32_e32 v111, v91, v112
	v_fma_f32 v112, v92, v114, -v131
	v_fmac_f32_e32 v113, v93, v114
	v_fma_f32 v114, v94, v116, -v132
	v_fmac_f32_e32 v115, v95, v116
	v_fma_f32 v116, v96, v118, -v133
	v_fmac_f32_e32 v117, v97, v118
	v_fma_f32 v118, v98, v120, -v134
	v_fmac_f32_e32 v119, v99, v120
	v_fma_f32 v120, v100, v122, -v135
	v_fmac_f32_e32 v121, v101, v122
	v_fma_f32 v122, v102, v124, -v136
	v_fmac_f32_e32 v123, v103, v124
	ds_store_2addr_b64 v73, v[61:62], v[67:68] offset0:33 offset1:66
	ds_store_2addr_b64 v73, v[104:105], v[106:107] offset0:99 offset1:132
	;; [unrolled: 1-line block ×6, first 2 shown]
.LBB0_13:
	s_wait_alu 0xfffe
	s_or_b32 exec_lo, exec_lo, s1
	global_wb scope:SCOPE_SE
	s_wait_dscnt 0x0
	s_barrier_signal -1
	s_barrier_wait -1
	global_inv scope:SCOPE_SE
	s_and_saveexec_b32 s1, vcc_lo
	s_cbranch_execz .LBB0_15
; %bb.14:
	v_add_nc_u32_e32 v0, 0x400, v73
	v_add_nc_u32_e32 v1, 0x800, v73
	ds_load_b64 v[65:66], v73
	ds_load_2addr_b64 v[56:59], v73 offset0:33 offset1:66
	ds_load_2addr_b64 v[48:51], v73 offset0:99 offset1:132
	;; [unrolled: 1-line block ×6, first 2 shown]
.LBB0_15:
	s_wait_alu 0xfffe
	s_or_b32 exec_lo, exec_lo, s1
	s_wait_dscnt 0x0
	v_dual_sub_f32 v91, v57, v3 :: v_dual_add_f32 v80, v2, v56
	v_add_f32_e32 v95, v3, v57
	v_dual_sub_f32 v93, v59, v1 :: v_dual_add_f32 v98, v1, v59
	s_delay_alu instid0(VALU_DEP_3) | instskip(NEXT) | instid1(VALU_DEP_3)
	v_dual_mul_f32 v104, 0xbf7e222b, v91 :: v_dual_sub_f32 v81, v56, v2
	v_mul_f32_e32 v100, 0x3f116cb1, v95
	v_mul_f32_e32 v97, 0xbf52af12, v91
	v_dual_mul_f32 v119, 0xbeb58ec6, v95 :: v_dual_add_f32 v82, v0, v58
	s_delay_alu instid0(VALU_DEP_4) | instskip(NEXT) | instid1(VALU_DEP_4)
	v_fma_f32 v62, 0x3df6dbef, v80, -v104
	v_fmamk_f32 v61, v81, 0xbf52af12, v100
	v_mul_f32_e32 v114, 0xbf6f5d39, v91
	v_mul_f32_e32 v109, 0x3df6dbef, v95
	v_fma_f32 v60, 0x3f116cb1, v80, -v97
	s_delay_alu instid0(VALU_DEP_4) | instskip(NEXT) | instid1(VALU_DEP_4)
	v_dual_add_f32 v62, v65, v62 :: v_dual_add_f32 v61, v66, v61
	v_fma_f32 v67, 0xbeb58ec6, v80, -v114
	v_dual_sub_f32 v83, v58, v0 :: v_dual_mul_f32 v116, 0xbf788fa5, v98
	v_mul_f32_e32 v112, 0xbe750f2a, v93
	v_add_f32_e32 v60, v65, v60
	s_delay_alu instid0(VALU_DEP_4) | instskip(SKIP_1) | instid1(VALU_DEP_4)
	v_add_f32_e32 v67, v65, v67
	v_dual_mul_f32 v107, 0xbeb58ec6, v98 :: v_dual_sub_f32 v94, v49, v43
	v_fma_f32 v86, 0xbf788fa5, v82, -v112
	v_mul_f32_e32 v101, 0xbf6f5d39, v93
	v_add_f32_e32 v102, v43, v49
	s_delay_alu instid0(VALU_DEP_4)
	v_fmamk_f32 v85, v83, 0xbf6f5d39, v107
	v_dual_mul_f32 v126, 0x3eedf032, v94 :: v_dual_add_f32 v103, v41, v51
	v_add_f32_e32 v62, v86, v62
	v_fma_f32 v84, 0xbeb58ec6, v82, -v101
	v_fmamk_f32 v63, v81, 0xbf7e222b, v109
	v_fmamk_f32 v68, v81, 0xbf6f5d39, v119
	v_sub_f32_e32 v96, v51, v41
	global_wb scope:SCOPE_SE
	v_dual_add_f32 v60, v84, v60 :: v_dual_add_f32 v63, v66, v63
	v_fmamk_f32 v84, v83, 0xbe750f2a, v116
	v_mul_f32_e32 v120, 0x3f29c268, v93
	v_add_f32_e32 v68, v66, v68
	s_barrier_signal -1
	s_barrier_wait -1
	v_add_f32_e32 v63, v84, v63
	v_fma_f32 v87, 0xbf3f9e67, v82, -v120
	v_mul_f32_e32 v128, 0xbf3f9e67, v98
	v_dual_add_f32 v84, v42, v48 :: v_dual_add_f32 v61, v85, v61
	v_sub_f32_e32 v85, v48, v42
	s_delay_alu instid0(VALU_DEP_4) | instskip(SKIP_4) | instid1(VALU_DEP_4)
	v_add_f32_e32 v67, v87, v67
	v_mul_f32_e32 v123, 0xbeb58ec6, v102
	v_mul_f32_e32 v110, 0xbf788fa5, v102
	v_mul_f32_e32 v108, 0xbe750f2a, v94
	v_dual_add_f32 v106, v47, v53 :: v_dual_mul_f32 v135, 0x3df6dbef, v103
	v_fmamk_f32 v89, v85, 0x3f6f5d39, v123
	v_fmamk_f32 v86, v83, 0x3f29c268, v128
	;; [unrolled: 1-line block ×3, first 2 shown]
	s_delay_alu instid0(VALU_DEP_4)
	v_mul_f32_e32 v122, 0x3df6dbef, v106
	v_mul_f32_e32 v137, 0xbf788fa5, v106
	v_add_f32_e32 v63, v89, v63
	v_dual_mul_f32 v115, 0x3f6f5d39, v94 :: v_dual_add_f32 v68, v86, v68
	v_fma_f32 v86, 0xbf788fa5, v84, -v108
	v_add_f32_e32 v61, v87, v61
	v_sub_f32_e32 v87, v50, v40
	v_mul_f32_e32 v113, 0x3f29c268, v96
	v_fma_f32 v88, 0xbeb58ec6, v84, -v115
	v_add_f32_e32 v60, v86, v60
	v_fma_f32 v86, 0x3f62ad3f, v84, -v126
	v_mul_f32_e32 v130, 0x3f62ad3f, v102
	s_delay_alu instid0(VALU_DEP_4) | instskip(SKIP_4) | instid1(VALU_DEP_3)
	v_dual_mul_f32 v131, 0xbf7e222b, v96 :: v_dual_add_f32 v62, v88, v62
	global_inv scope:SCOPE_SE
	v_dual_add_f32 v67, v86, v67 :: v_dual_add_f32 v86, v40, v50
	v_dual_mul_f32 v121, 0x3eedf032, v96 :: v_dual_fmamk_f32 v88, v85, 0x3eedf032, v130
	v_mul_f32_e32 v117, 0xbf3f9e67, v103
	v_fma_f32 v89, 0xbf3f9e67, v86, -v113
	v_mul_f32_e32 v127, 0x3f62ad3f, v103
	s_delay_alu instid0(VALU_DEP_4) | instskip(SKIP_2) | instid1(VALU_DEP_4)
	v_fma_f32 v92, 0x3f62ad3f, v86, -v121
	v_add_f32_e32 v68, v88, v68
	v_fmamk_f32 v90, v87, 0x3f29c268, v117
	v_dual_add_f32 v60, v89, v60 :: v_dual_fmamk_f32 v99, v87, 0x3eedf032, v127
	s_delay_alu instid0(VALU_DEP_4) | instskip(SKIP_2) | instid1(VALU_DEP_4)
	v_add_f32_e32 v62, v92, v62
	v_dual_add_f32 v88, v46, v52 :: v_dual_sub_f32 v89, v52, v46
	v_fmamk_f32 v92, v87, 0xbf7e222b, v135
	v_add_f32_e32 v63, v99, v63
	v_sub_f32_e32 v99, v53, v47
	v_add_f32_e32 v61, v90, v61
	v_fma_f32 v90, 0x3df6dbef, v86, -v131
	v_add_f32_e32 v68, v92, v68
	s_delay_alu instid0(VALU_DEP_4) | instskip(SKIP_2) | instid1(VALU_DEP_3)
	v_mul_f32_e32 v118, 0x3f7e222b, v99
	v_mul_f32_e32 v125, 0xbf52af12, v99
	;; [unrolled: 1-line block ×3, first 2 shown]
	v_fma_f32 v105, 0x3df6dbef, v88, -v118
	v_add_f32_e32 v67, v90, v67
	s_delay_alu instid0(VALU_DEP_4) | instskip(SKIP_3) | instid1(VALU_DEP_3)
	v_fma_f32 v90, 0x3f116cb1, v88, -v125
	v_fmamk_f32 v111, v89, 0x3f7e222b, v122
	v_fma_f32 v92, 0xbf788fa5, v88, -v136
	v_add_f32_e32 v60, v105, v60
	v_dual_add_f32 v140, v90, v62 :: v_dual_add_f32 v61, v111, v61
	s_delay_alu instid0(VALU_DEP_3) | instskip(SKIP_1) | instid1(VALU_DEP_1)
	v_dual_add_f32 v67, v92, v67 :: v_dual_sub_f32 v92, v54, v44
	v_dual_add_f32 v90, v44, v54 :: v_dual_fmamk_f32 v129, v89, 0x3e750f2a, v137
	v_dual_mul_f32 v133, 0x3f116cb1, v106 :: v_dual_add_f32 v68, v129, v68
	s_delay_alu instid0(VALU_DEP_1) | instskip(NEXT) | instid1(VALU_DEP_1)
	v_dual_sub_f32 v105, v55, v45 :: v_dual_fmamk_f32 v62, v89, 0xbf52af12, v133
	v_dual_mul_f32 v124, 0x3eedf032, v105 :: v_dual_add_f32 v141, v62, v63
	v_mul_f32_e32 v132, 0xbf29c268, v105
	s_delay_alu instid0(VALU_DEP_2) | instskip(SKIP_1) | instid1(VALU_DEP_3)
	v_fma_f32 v62, 0x3f62ad3f, v90, -v124
	v_add_f32_e32 v111, v45, v55
	v_fma_f32 v142, 0xbf3f9e67, v90, -v132
	s_delay_alu instid0(VALU_DEP_2) | instskip(SKIP_2) | instid1(VALU_DEP_3)
	v_dual_add_f32 v62, v62, v60 :: v_dual_mul_f32 v129, 0x3f62ad3f, v111
	v_mul_f32_e32 v139, 0x3f116cb1, v111
	v_mul_f32_e32 v138, 0x3f52af12, v105
	v_fmamk_f32 v60, v92, 0x3eedf032, v129
	v_mul_f32_e32 v134, 0xbf3f9e67, v111
	s_delay_alu instid0(VALU_DEP_4) | instskip(NEXT) | instid1(VALU_DEP_4)
	v_fmamk_f32 v145, v92, 0x3f52af12, v139
	v_fma_f32 v144, 0x3f116cb1, v90, -v138
	s_delay_alu instid0(VALU_DEP_4) | instskip(NEXT) | instid1(VALU_DEP_4)
	v_add_f32_e32 v63, v60, v61
	v_dual_fmamk_f32 v143, v92, 0xbf29c268, v134 :: v_dual_add_f32 v60, v142, v140
	s_delay_alu instid0(VALU_DEP_3) | instskip(NEXT) | instid1(VALU_DEP_2)
	v_dual_add_f32 v67, v144, v67 :: v_dual_add_f32 v68, v145, v68
	v_add_f32_e32 v61, v143, v141
	s_and_saveexec_b32 s1, vcc_lo
	s_cbranch_execz .LBB0_17
; %bb.16:
	v_mul_f32_e32 v168, 0xbf788fa5, v95
	v_dual_mul_f32 v155, 0xbe750f2a, v85 :: v_dual_mul_f32 v180, 0xbe750f2a, v91
	v_dual_mul_f32 v158, 0x3f62ad3f, v84 :: v_dual_mul_f32 v173, 0x3f62ad3f, v98
	s_delay_alu instid0(VALU_DEP_3) | instskip(SKIP_1) | instid1(VALU_DEP_4)
	v_fmamk_f32 v140, v81, 0x3e750f2a, v168
	v_mul_f32_e32 v145, 0xbf52af12, v81
	v_dual_mul_f32 v154, 0xbf788fa5, v84 :: v_dual_fmamk_f32 v183, v80, 0xbf788fa5, v180
	v_dual_mul_f32 v163, 0x3eedf032, v87 :: v_dual_mul_f32 v184, 0x3eedf032, v93
	s_delay_alu instid0(VALU_DEP_4) | instskip(SKIP_1) | instid1(VALU_DEP_4)
	v_dual_add_f32 v140, v66, v140 :: v_dual_fmamk_f32 v141, v83, 0xbeedf032, v173
	v_mul_f32_e32 v147, 0xbf7e222b, v81
	v_dual_mul_f32 v146, 0x3df6dbef, v80 :: v_dual_add_f32 v183, v65, v183
	v_dual_mul_f32 v178, 0xbf29c268, v92 :: v_dual_mul_f32 v187, 0xbf29c268, v94
	s_delay_alu instid0(VALU_DEP_4) | instskip(SKIP_3) | instid1(VALU_DEP_3)
	v_dual_mul_f32 v177, 0xbf3f9e67, v102 :: v_dual_add_f32 v140, v141, v140
	v_dual_fmamk_f32 v186, v82, 0x3f62ad3f, v184 :: v_dual_mul_f32 v199, 0x3f62ad3f, v106
	v_dual_sub_f32 v109, v109, v147 :: v_dual_mul_f32 v148, 0xbeb58ec6, v82
	v_mul_f32_e32 v188, 0x3df6dbef, v111
	v_dual_add_f32 v183, v186, v183 :: v_dual_fmamk_f32 v186, v84, 0xbf3f9e67, v187
	s_delay_alu instid0(VALU_DEP_3)
	v_dual_add_f32 v109, v66, v109 :: v_dual_mul_f32 v190, 0xbf3f9e67, v95
	v_mul_f32_e32 v153, 0x3f29c268, v83
	v_fmamk_f32 v141, v85, 0x3f29c268, v177
	v_mul_f32_e32 v143, 0xbf6f5d39, v81
	v_dual_mul_f32 v142, 0xbeb58ec6, v80 :: v_dual_mul_f32 v185, 0xbeb58ec6, v106
	v_dual_mul_f32 v150, 0xbf788fa5, v82 :: v_dual_mul_f32 v171, 0xbf788fa5, v88
	s_delay_alu instid0(VALU_DEP_3) | instskip(SKIP_1) | instid1(VALU_DEP_3)
	v_dual_add_f32 v140, v141, v140 :: v_dual_sub_f32 v119, v119, v143
	v_mul_f32_e32 v192, 0x3df6dbef, v98
	v_dual_add_f32 v112, v150, v112 :: v_dual_mul_f32 v95, 0x3f62ad3f, v95
	v_add_f32_e32 v114, v142, v114
	s_delay_alu instid0(VALU_DEP_4) | instskip(NEXT) | instid1(VALU_DEP_4)
	v_add_f32_e32 v119, v66, v119
	v_dual_mul_f32 v165, 0xbf7e222b, v87 :: v_dual_fmamk_f32 v194, v83, 0xbf7e222b, v192
	v_mul_f32_e32 v201, 0xbf52af12, v94
	v_mul_f32_e32 v181, 0x3f116cb1, v103
	;; [unrolled: 1-line block ×3, first 2 shown]
	v_sub_f32_e32 v100, v100, v145
	v_dual_mul_f32 v152, 0xbf3f9e67, v82 :: v_dual_add_f32 v183, v186, v183
	s_delay_alu instid0(VALU_DEP_4) | instskip(SKIP_1) | instid1(VALU_DEP_3)
	v_fmamk_f32 v141, v87, 0xbf52af12, v181
	v_mul_f32_e32 v149, 0xbf6f5d39, v83
	v_dual_mul_f32 v195, 0x3f116cb1, v102 :: v_dual_add_f32 v120, v152, v120
	v_add_f32_e32 v100, v66, v100
	s_delay_alu instid0(VALU_DEP_4) | instskip(SKIP_4) | instid1(VALU_DEP_4)
	v_add_f32_e32 v140, v141, v140
	v_fmamk_f32 v141, v89, 0x3f6f5d39, v185
	v_mul_f32_e32 v151, 0xbe750f2a, v83
	v_dual_mul_f32 v204, 0x3eedf032, v99 :: v_dual_sub_f32 v107, v107, v149
	v_dual_mul_f32 v182, 0x3f52af12, v92 :: v_dual_fmamk_f32 v197, v85, 0x3f52af12, v195
	v_dual_add_f32 v140, v141, v140 :: v_dual_fmamk_f32 v141, v92, 0xbf7e222b, v188
	s_delay_alu instid0(VALU_DEP_4) | instskip(SKIP_2) | instid1(VALU_DEP_4)
	v_sub_f32_e32 v116, v116, v151
	v_mul_f32_e32 v160, 0xbf3f9e67, v86
	v_dual_add_f32 v100, v107, v100 :: v_dual_sub_f32 v107, v110, v155
	v_add_f32_e32 v141, v141, v140
	s_delay_alu instid0(VALU_DEP_4) | instskip(SKIP_3) | instid1(VALU_DEP_4)
	v_dual_add_f32 v109, v116, v109 :: v_dual_fmamk_f32 v140, v81, 0x3f29c268, v190
	v_mul_f32_e32 v157, 0x3f6f5d39, v85
	v_dual_mul_f32 v193, 0x3f7e222b, v105 :: v_dual_add_f32 v114, v65, v114
	v_mul_f32_e32 v202, 0xbeb58ec6, v111
	v_dual_add_f32 v140, v66, v140 :: v_dual_mul_f32 v159, 0x3eedf032, v85
	s_delay_alu instid0(VALU_DEP_4) | instskip(SKIP_2) | instid1(VALU_DEP_4)
	v_sub_f32_e32 v116, v123, v157
	v_mul_f32_e32 v198, 0xbf788fa5, v103
	v_sub_f32_e32 v128, v128, v153
	v_dual_add_f32 v194, v194, v140 :: v_dual_mul_f32 v161, 0x3f29c268, v87
	s_delay_alu instid0(VALU_DEP_4) | instskip(SKIP_1) | instid1(VALU_DEP_3)
	v_add_f32_e32 v109, v116, v109
	v_dual_add_f32 v114, v120, v114 :: v_dual_mul_f32 v189, 0x3f52af12, v96
	v_dual_add_f32 v194, v197, v194 :: v_dual_fmamk_f32 v197, v87, 0xbe750f2a, v198
	v_mul_f32_e32 v175, 0x3eedf032, v92
	v_dual_mul_f32 v191, 0xbf6f5d39, v99 :: v_dual_add_f32 v120, v158, v126
	v_dual_mul_f32 v172, 0x3e750f2a, v89 :: v_dual_mul_f32 v203, 0x3e750f2a, v96
	s_delay_alu instid0(VALU_DEP_4) | instskip(SKIP_2) | instid1(VALU_DEP_4)
	v_add_f32_e32 v194, v197, v194
	v_fmamk_f32 v197, v89, 0xbeedf032, v199
	v_dual_mul_f32 v196, 0xbf29c268, v91 :: v_dual_add_f32 v123, v171, v136
	v_sub_f32_e32 v126, v137, v172
	v_dual_mul_f32 v144, 0x3f116cb1, v80 :: v_dual_mul_f32 v179, 0x3f116cb1, v90
	s_delay_alu instid0(VALU_DEP_4) | instskip(SKIP_2) | instid1(VALU_DEP_4)
	v_dual_add_f32 v194, v197, v194 :: v_dual_fmamk_f32 v197, v92, 0x3f6f5d39, v202
	v_mul_f32_e32 v176, 0xbf3f9e67, v90
	v_add_f32_e32 v114, v120, v114
	v_dual_sub_f32 v116, v127, v163 :: v_dual_add_f32 v97, v144, v97
	s_delay_alu instid0(VALU_DEP_4) | instskip(SKIP_3) | instid1(VALU_DEP_4)
	v_dual_add_f32 v143, v197, v194 :: v_dual_mul_f32 v194, 0xbf6f5d39, v105
	v_add_f32_e32 v119, v128, v119
	v_dual_sub_f32 v128, v130, v159 :: v_dual_mul_f32 v169, 0x3f116cb1, v88
	v_fmamk_f32 v186, v86, 0x3f116cb1, v189
	v_fmamk_f32 v142, v90, 0xbeb58ec6, v194
	s_delay_alu instid0(VALU_DEP_3) | instskip(NEXT) | instid1(VALU_DEP_3)
	v_dual_mul_f32 v156, 0xbeb58ec6, v84 :: v_dual_add_f32 v119, v128, v119
	v_dual_sub_f32 v128, v135, v165 :: v_dual_add_f32 v183, v186, v183
	v_add_f32_e32 v97, v65, v97
	v_add_f32_e32 v109, v116, v109
	;; [unrolled: 1-line block ×3, first 2 shown]
	s_delay_alu instid0(VALU_DEP_4) | instskip(SKIP_2) | instid1(VALU_DEP_3)
	v_add_f32_e32 v119, v128, v119
	v_fmamk_f32 v186, v88, 0xbeb58ec6, v191
	v_dual_sub_f32 v116, v133, v170 :: v_dual_mul_f32 v103, 0xbeb58ec6, v103
	v_dual_add_f32 v100, v107, v100 :: v_dual_add_f32 v119, v126, v119
	s_delay_alu instid0(VALU_DEP_3) | instskip(SKIP_3) | instid1(VALU_DEP_3)
	v_dual_mul_f32 v162, 0x3f62ad3f, v86 :: v_dual_add_f32 v183, v186, v183
	v_fmamk_f32 v186, v90, 0x3df6dbef, v193
	v_dual_mul_f32 v167, 0x3f7e222b, v89 :: v_dual_sub_f32 v126, v139, v182
	v_sub_f32_e32 v107, v117, v161
	v_dual_add_f32 v97, v101, v97 :: v_dual_add_f32 v140, v186, v183
	v_fmamk_f32 v183, v80, 0xbf3f9e67, v196
	v_mul_f32_e32 v164, 0x3df6dbef, v86
	v_dual_mul_f32 v186, 0x3f7e222b, v93 :: v_dual_add_f32 v101, v154, v108
	s_delay_alu instid0(VALU_DEP_3) | instskip(NEXT) | instid1(VALU_DEP_3)
	v_dual_add_f32 v104, v146, v104 :: v_dual_add_f32 v183, v65, v183
	v_add_f32_e32 v120, v164, v131
	v_dual_add_f32 v109, v116, v109 :: v_dual_add_f32 v100, v107, v100
	s_delay_alu instid0(VALU_DEP_3) | instskip(NEXT) | instid1(VALU_DEP_3)
	v_dual_add_f32 v104, v65, v104 :: v_dual_sub_f32 v107, v122, v167
	v_add_f32_e32 v114, v120, v114
	v_dual_add_f32 v120, v126, v119 :: v_dual_add_f32 v119, v179, v138
	v_fmamk_f32 v200, v82, 0x3df6dbef, v186
	v_mul_f32_e32 v166, 0x3df6dbef, v88
	s_delay_alu instid0(VALU_DEP_4) | instskip(SKIP_1) | instid1(VALU_DEP_4)
	v_add_f32_e32 v114, v123, v114
	v_dual_add_f32 v104, v112, v104 :: v_dual_add_f32 v97, v101, v97
	v_add_f32_e32 v183, v200, v183
	v_fmamk_f32 v200, v84, 0x3f116cb1, v201
	v_mul_f32_e32 v174, 0x3f62ad3f, v90
	v_add_f32_e32 v119, v119, v114
	v_dual_sub_f32 v114, v134, v178 :: v_dual_add_f32 v101, v160, v113
	s_delay_alu instid0(VALU_DEP_4) | instskip(SKIP_2) | instid1(VALU_DEP_4)
	v_dual_add_f32 v183, v200, v183 :: v_dual_fmamk_f32 v200, v86, 0xbf788fa5, v203
	v_add_f32_e32 v112, v156, v115
	v_add_f32_e32 v110, v169, v125
	;; [unrolled: 1-line block ×5, first 2 shown]
	v_fmamk_f32 v183, v88, 0x3f62ad3f, v204
	v_add_f32_e32 v104, v112, v104
	v_dual_add_f32 v112, v162, v121 :: v_dual_add_f32 v57, v57, v66
	v_add_f32_e32 v97, v101, v97
	v_dual_add_f32 v101, v174, v124 :: v_dual_add_f32 v56, v56, v65
	s_delay_alu instid0(VALU_DEP_3) | instskip(SKIP_1) | instid1(VALU_DEP_3)
	v_dual_add_f32 v104, v112, v104 :: v_dual_add_f32 v57, v59, v57
	v_fmac_f32_e32 v168, 0xbe750f2a, v81
	v_add_f32_e32 v97, v101, v97
	s_delay_alu instid0(VALU_DEP_3) | instskip(NEXT) | instid1(VALU_DEP_4)
	v_dual_mul_f32 v101, 0xbf3f9e67, v106 :: v_dual_add_f32 v104, v110, v104
	v_dual_add_f32 v110, v176, v132 :: v_dual_add_f32 v49, v49, v57
	v_dual_mul_f32 v57, 0xbeedf032, v91 :: v_dual_add_f32 v100, v107, v100
	s_delay_alu instid0(VALU_DEP_2) | instskip(NEXT) | instid1(VALU_DEP_3)
	v_dual_fmamk_f32 v107, v81, 0x3eedf032, v95 :: v_dual_add_f32 v108, v110, v104
	v_dual_sub_f32 v104, v129, v175 :: v_dual_add_f32 v49, v51, v49
	v_mul_f32_e32 v110, 0x3f116cb1, v98
	s_delay_alu instid0(VALU_DEP_4) | instskip(SKIP_1) | instid1(VALU_DEP_4)
	v_fmamk_f32 v51, v80, 0x3f62ad3f, v57
	v_fmac_f32_e32 v188, 0x3f7e222b, v92
	v_dual_add_f32 v98, v104, v100 :: v_dual_add_f32 v49, v53, v49
	v_mul_f32_e32 v102, 0x3df6dbef, v102
	v_dual_add_f32 v100, v66, v107 :: v_dual_mul_f32 v53, 0xbf7e222b, v94
	v_fmac_f32_e32 v173, 0x3eedf032, v83
	s_delay_alu instid0(VALU_DEP_4) | instskip(SKIP_3) | instid1(VALU_DEP_4)
	v_add_f32_e32 v49, v55, v49
	v_fmamk_f32 v104, v83, 0x3f52af12, v110
	v_fmac_f32_e32 v190, 0xbf29c268, v81
	v_fmac_f32_e32 v192, 0x3f7e222b, v83
	v_dual_fmac_f32 v198, 0x3e750f2a, v87 :: v_dual_add_f32 v45, v45, v49
	v_mul_f32_e32 v49, 0xbf6f5d39, v96
	v_add_f32_e32 v56, v58, v56
	v_fmac_f32_e32 v202, 0xbf6f5d39, v92
	v_add_f32_e32 v130, v183, v153
	v_add_f32_e32 v45, v47, v45
	s_delay_alu instid0(VALU_DEP_4) | instskip(SKIP_3) | instid1(VALU_DEP_4)
	v_dual_add_f32 v109, v114, v109 :: v_dual_add_f32 v48, v48, v56
	v_mul_f32_e32 v56, 0xbf52af12, v93
	v_add_f32_e32 v100, v104, v100
	v_fmamk_f32 v104, v85, 0x3f7e222b, v102
	v_dual_add_f32 v41, v41, v45 :: v_dual_add_f32 v48, v50, v48
	s_delay_alu instid0(VALU_DEP_4) | instskip(NEXT) | instid1(VALU_DEP_3)
	v_dual_add_f32 v50, v65, v51 :: v_dual_fmamk_f32 v51, v82, 0x3f116cb1, v56
	v_add_f32_e32 v59, v104, v100
	s_delay_alu instid0(VALU_DEP_3) | instskip(NEXT) | instid1(VALU_DEP_3)
	v_dual_add_f32 v41, v43, v41 :: v_dual_add_f32 v48, v52, v48
	v_dual_fmac_f32 v185, 0xbf6f5d39, v89 :: v_dual_add_f32 v50, v51, v50
	v_fmamk_f32 v51, v84, 0x3df6dbef, v53
	s_delay_alu instid0(VALU_DEP_3)
	v_add_f32_e32 v1, v1, v41
	v_add_f32_e32 v41, v66, v168
	;; [unrolled: 1-line block ×3, first 2 shown]
	v_fmamk_f32 v100, v87, 0x3f6f5d39, v103
	v_dual_add_f32 v50, v51, v50 :: v_dual_mul_f32 v51, 0xbf29c268, v99
	v_add_f32_e32 v1, v3, v1
	v_add_f32_e32 v3, v173, v41
	;; [unrolled: 1-line block ×3, first 2 shown]
	v_dual_add_f32 v58, v100, v59 :: v_dual_fmamk_f32 v59, v89, 0x3f29c268, v101
	v_fmamk_f32 v48, v86, 0xbeb58ec6, v49
	v_fma_f32 v41, 0x3f62ad3f, v82, -v184
	s_delay_alu instid0(VALU_DEP_4) | instskip(NEXT) | instid1(VALU_DEP_4)
	v_add_f32_e32 v45, v46, v47
	v_dual_fmamk_f32 v47, v88, 0xbf3f9e67, v51 :: v_dual_add_f32 v58, v59, v58
	s_delay_alu instid0(VALU_DEP_4) | instskip(NEXT) | instid1(VALU_DEP_3)
	v_dual_add_f32 v46, v48, v50 :: v_dual_fmac_f32 v181, 0x3f52af12, v87
	v_add_f32_e32 v40, v40, v45
	v_fmac_f32_e32 v177, 0xbf29c268, v85
	v_fmac_f32_e32 v195, 0xbf52af12, v85
	s_delay_alu instid0(VALU_DEP_4) | instskip(NEXT) | instid1(VALU_DEP_4)
	v_add_f32_e32 v43, v47, v46
	v_dual_fmac_f32 v199, 0x3eedf032, v89 :: v_dual_add_f32 v40, v42, v40
	v_fma_f32 v42, 0xbf788fa5, v80, -v180
	v_fmac_f32_e32 v95, 0xbeedf032, v81
	v_fma_f32 v47, 0x3f116cb1, v82, -v56
	v_fma_f32 v46, 0x3df6dbef, v82, -v186
	v_add_f32_e32 v0, v0, v40
	v_add_f32_e32 v40, v65, v42
	v_mul_f32_e32 v48, 0xbe750f2a, v105
	v_mul_f32_e32 v52, 0xbf788fa5, v111
	v_fma_f32 v42, 0xbeb58ec6, v88, -v191
	v_add_f32_e32 v0, v2, v0
	s_delay_alu instid0(VALU_DEP_4) | instskip(NEXT) | instid1(VALU_DEP_4)
	v_dual_add_f32 v2, v177, v3 :: v_dual_fmamk_f32 v45, v90, 0xbf788fa5, v48
	v_dual_fmamk_f32 v54, v92, 0x3e750f2a, v52 :: v_dual_add_f32 v3, v41, v40
	v_fma_f32 v40, 0xbf3f9e67, v84, -v187
	s_delay_alu instid0(VALU_DEP_3) | instskip(NEXT) | instid1(VALU_DEP_3)
	v_add_f32_e32 v2, v181, v2
	v_dual_add_f32 v43, v45, v43 :: v_dual_add_f32 v44, v54, v58
	v_fmac_f32_e32 v103, 0xbf6f5d39, v87
	s_delay_alu instid0(VALU_DEP_4) | instskip(SKIP_4) | instid1(VALU_DEP_4)
	v_add_f32_e32 v3, v40, v3
	v_fma_f32 v40, 0x3f116cb1, v86, -v189
	v_add_f32_e32 v2, v185, v2
	v_fma_f32 v48, 0xbf788fa5, v90, -v48
	v_fmac_f32_e32 v102, 0xbf7e222b, v85
	v_dual_fmac_f32 v101, 0xbf29c268, v89 :: v_dual_add_f32 v40, v40, v3
	s_delay_alu instid0(VALU_DEP_4)
	v_add_f32_e32 v3, v188, v2
	v_add_f32_e32 v41, v66, v190
	v_fma_f32 v2, 0xbf3f9e67, v80, -v196
	v_fmac_f32_e32 v52, 0xbe750f2a, v92
	v_add_f32_e32 v40, v42, v40
	v_fma_f32 v42, 0x3df6dbef, v90, -v193
	v_add_f32_e32 v142, v142, v130
	v_add_f32_e32 v45, v65, v2
	s_delay_alu instid0(VALU_DEP_3) | instskip(NEXT) | instid1(VALU_DEP_2)
	v_dual_add_f32 v41, v192, v41 :: v_dual_add_f32 v2, v42, v40
	v_add_f32_e32 v42, v46, v45
	s_delay_alu instid0(VALU_DEP_2) | instskip(SKIP_2) | instid1(VALU_DEP_3)
	v_add_f32_e32 v41, v195, v41
	v_fma_f32 v45, 0x3f116cb1, v84, -v201
	v_add_f32_e32 v46, v66, v95
	v_add_f32_e32 v41, v198, v41
	s_delay_alu instid0(VALU_DEP_1) | instskip(SKIP_1) | instid1(VALU_DEP_1)
	v_add_f32_e32 v40, v199, v41
	v_fma_f32 v41, 0x3f62ad3f, v80, -v57
	v_add_f32_e32 v41, v65, v41
	s_delay_alu instid0(VALU_DEP_1) | instskip(SKIP_1) | instid1(VALU_DEP_1)
	v_add_f32_e32 v41, v47, v41
	v_fma_f32 v47, 0x3df6dbef, v84, -v53
	v_add_f32_e32 v41, v47, v41
	v_fma_f32 v47, 0xbeb58ec6, v86, -v49
	v_and_b32_e32 v49, 0xffff, v72
	v_fmac_f32_e32 v110, 0xbf52af12, v83
	v_add_f32_e32 v42, v45, v42
	v_fma_f32 v45, 0xbf788fa5, v86, -v203
	v_add_f32_e32 v41, v47, v41
	v_fma_f32 v47, 0xbeb58ec6, v90, -v194
	v_add_f32_e32 v46, v110, v46
	v_lshl_add_u32 v49, v49, 3, v71
	v_add_f32_e32 v42, v45, v42
	v_fma_f32 v45, 0x3f62ad3f, v88, -v204
	s_delay_alu instid0(VALU_DEP_4) | instskip(NEXT) | instid1(VALU_DEP_2)
	v_add_f32_e32 v46, v102, v46
	v_add_f32_e32 v42, v45, v42
	s_delay_alu instid0(VALU_DEP_2) | instskip(SKIP_1) | instid1(VALU_DEP_2)
	v_add_f32_e32 v45, v103, v46
	v_fma_f32 v46, 0xbf3f9e67, v88, -v51
	v_add_f32_e32 v45, v101, v45
	s_delay_alu instid0(VALU_DEP_2) | instskip(SKIP_1) | instid1(VALU_DEP_3)
	v_add_f32_e32 v50, v46, v41
	v_dual_add_f32 v41, v202, v40 :: v_dual_add_f32 v40, v47, v42
	v_add_f32_e32 v46, v52, v45
	s_delay_alu instid0(VALU_DEP_3)
	v_add_f32_e32 v45, v48, v50
	ds_store_2addr_b64 v49, v[0:1], v[43:44] offset1:1
	ds_store_2addr_b64 v49, v[97:98], v[108:109] offset0:2 offset1:3
	ds_store_2addr_b64 v49, v[119:120], v[142:143] offset0:4 offset1:5
	;; [unrolled: 1-line block ×5, first 2 shown]
	ds_store_b64 v49, v[45:46] offset:96
.LBB0_17:
	s_wait_alu 0xfffe
	s_or_b32 exec_lo, exec_lo, s1
	v_add_nc_u32_e32 v54, 0x800, v74
	global_wb scope:SCOPE_SE
	s_wait_dscnt 0x0
	s_barrier_signal -1
	s_barrier_wait -1
	global_inv scope:SCOPE_SE
	ds_load_2addr_b64 v[40:43], v74 offset1:39
	ds_load_2addr_b64 v[0:3], v74 offset0:78 offset1:143
	ds_load_2addr_b64 v[48:51], v54 offset0:30 offset1:69
	;; [unrolled: 1-line block ×3, first 2 shown]
	ds_load_b64 v[52:53], v74 offset:2912
	s_and_saveexec_b32 s1, s0
	s_cbranch_execz .LBB0_19
; %bb.18:
	ds_load_b64 v[67:68], v74 offset:936
	ds_load_2addr_b64 v[60:63], v54 offset0:4 offset1:147
.LBB0_19:
	s_wait_alu 0xfffe
	s_or_b32 exec_lo, exec_lo, s1
	s_wait_dscnt 0x2
	v_dual_mul_f32 v54, v21, v3 :: v_dual_mul_f32 v55, v23, v49
	v_mul_f32_e32 v21, v21, v2
	v_mul_f32_e32 v23, v23, v48
	global_wb scope:SCOPE_SE
	s_wait_dscnt 0x0
	v_fmac_f32_e32 v54, v20, v2
	v_mul_f32_e32 v2, v17, v44
	v_fma_f32 v3, v20, v3, -v21
	v_dual_mul_f32 v21, v19, v51 :: v_dual_mul_f32 v20, v17, v45
	v_fmac_f32_e32 v55, v22, v48
	v_fma_f32 v17, v22, v49, -v23
	v_fma_f32 v22, v16, v45, -v2
	v_mul_f32_e32 v23, v9, v47
	v_dual_mul_f32 v2, v9, v46 :: v_dual_mul_f32 v9, v11, v52
	v_dual_fmac_f32 v20, v16, v44 :: v_dual_mul_f32 v19, v19, v50
	s_delay_alu instid0(VALU_DEP_3) | instskip(NEXT) | instid1(VALU_DEP_3)
	v_dual_mul_f32 v44, v11, v53 :: v_dual_fmac_f32 v23, v8, v46
	v_fma_f32 v45, v8, v47, -v2
	v_add_f32_e32 v2, v54, v55
	v_add_f32_e32 v8, v40, v54
	v_fma_f32 v46, v10, v53, -v9
	v_add_f32_e32 v9, v3, v17
	v_fmac_f32_e32 v21, v18, v50
	v_fma_f32 v19, v18, v51, -v19
	v_add_f32_e32 v8, v8, v55
	v_fma_f32 v2, -0.5, v2, v40
	v_dual_sub_f32 v11, v3, v17 :: v_dual_add_f32 v16, v41, v3
	v_fma_f32 v3, -0.5, v9, v41
	v_sub_f32_e32 v18, v54, v55
	v_fmac_f32_e32 v44, v10, v52
	s_delay_alu instid0(VALU_DEP_4) | instskip(SKIP_1) | instid1(VALU_DEP_4)
	v_dual_fmamk_f32 v10, v11, 0xbf5db3d7, v2 :: v_dual_add_f32 v9, v16, v17
	v_dual_add_f32 v17, v42, v20 :: v_dual_fmac_f32 v2, 0x3f5db3d7, v11
	v_dual_fmamk_f32 v11, v18, 0x3f5db3d7, v3 :: v_dual_add_f32 v16, v20, v21
	v_dual_fmac_f32 v3, 0xbf5db3d7, v18 :: v_dual_add_f32 v18, v22, v19
	v_dual_sub_f32 v40, v22, v19 :: v_dual_sub_f32 v41, v23, v44
	s_delay_alu instid0(VALU_DEP_3) | instskip(SKIP_1) | instid1(VALU_DEP_4)
	v_fma_f32 v42, -0.5, v16, v42
	v_dual_add_f32 v16, v17, v21 :: v_dual_add_f32 v17, v43, v22
	v_dual_fmac_f32 v43, -0.5, v18 :: v_dual_sub_f32 v20, v20, v21
	v_dual_add_f32 v21, v23, v44 :: v_dual_add_f32 v22, v0, v23
	s_delay_alu instid0(VALU_DEP_3) | instskip(NEXT) | instid1(VALU_DEP_3)
	v_dual_add_f32 v17, v17, v19 :: v_dual_fmamk_f32 v18, v40, 0xbf5db3d7, v42
	v_dual_fmac_f32 v42, 0x3f5db3d7, v40 :: v_dual_fmamk_f32 v19, v20, 0x3f5db3d7, v43
	v_dual_fmac_f32 v43, 0xbf5db3d7, v20 :: v_dual_add_f32 v20, v45, v46
	s_delay_alu instid0(VALU_DEP_4)
	v_fma_f32 v0, -0.5, v21, v0
	v_sub_f32_e32 v21, v45, v46
	v_add_f32_e32 v40, v1, v45
	s_barrier_signal -1
	v_fmac_f32_e32 v1, -0.5, v20
	v_add_f32_e32 v20, v22, v44
	v_fmamk_f32 v22, v21, 0xbf5db3d7, v0
	v_dual_fmac_f32 v0, 0x3f5db3d7, v21 :: v_dual_add_f32 v21, v40, v46
	s_delay_alu instid0(VALU_DEP_4)
	v_fmamk_f32 v23, v41, 0x3f5db3d7, v1
	v_fmac_f32_e32 v1, 0xbf5db3d7, v41
	s_barrier_wait -1
	global_inv scope:SCOPE_SE
	ds_store_2addr_b64 v79, v[8:9], v[10:11] offset1:13
	ds_store_b64 v79, v[2:3] offset:208
	ds_store_2addr_b64 v78, v[16:17], v[18:19] offset1:13
	ds_store_b64 v78, v[42:43] offset:208
	;; [unrolled: 2-line block ×3, first 2 shown]
	s_and_saveexec_b32 s1, s0
	s_cbranch_execz .LBB0_21
; %bb.20:
	v_dual_mul_f32 v0, v5, v60 :: v_dual_mul_f32 v1, v7, v62
	v_dual_mul_f32 v2, v5, v61 :: v_dual_mul_f32 v7, v7, v63
	s_delay_alu instid0(VALU_DEP_2) | instskip(NEXT) | instid1(VALU_DEP_3)
	v_fma_f32 v0, v4, v61, -v0
	v_fma_f32 v3, v6, v63, -v1
	s_delay_alu instid0(VALU_DEP_3) | instskip(SKIP_1) | instid1(VALU_DEP_4)
	v_dual_fmac_f32 v2, v4, v60 :: v_dual_fmac_f32 v7, v6, v62
	v_mul_u32_u24_e32 v1, 39, v76
	v_add_f32_e32 v9, v68, v0
	s_delay_alu instid0(VALU_DEP_4) | instskip(NEXT) | instid1(VALU_DEP_4)
	v_sub_f32_e32 v10, v0, v3
	v_add_f32_e32 v5, v2, v7
	v_sub_f32_e32 v8, v2, v7
	v_add_f32_e32 v2, v67, v2
	v_add_f32_e32 v4, v0, v3
	v_add_nc_u32_e32 v6, v1, v75
	v_fma_f32 v0, -0.5, v5, v67
	v_add_f32_e32 v3, v9, v3
	v_add_f32_e32 v2, v2, v7
	v_fma_f32 v1, -0.5, v4, v68
	v_lshl_add_u32 v6, v6, 3, v71
	v_fmamk_f32 v4, v10, 0x3f5db3d7, v0
	s_delay_alu instid0(VALU_DEP_3)
	v_dual_fmac_f32 v0, 0xbf5db3d7, v10 :: v_dual_fmamk_f32 v5, v8, 0xbf5db3d7, v1
	v_fmac_f32_e32 v1, 0x3f5db3d7, v8
	ds_store_2addr_b64 v6, v[2:3], v[0:1] offset1:13
	ds_store_b64 v6, v[4:5] offset:208
.LBB0_21:
	s_wait_alu 0xfffe
	s_or_b32 exec_lo, exec_lo, s1
	global_wb scope:SCOPE_SE
	s_wait_dscnt 0x0
	s_barrier_signal -1
	s_barrier_wait -1
	global_inv scope:SCOPE_SE
	ds_load_2addr_b64 v[0:3], v74 offset1:39
	ds_load_b64 v[40:41], v74 offset:624
	ds_load_2addr_b64 v[4:7], v74 offset0:117 offset1:156
	ds_load_2addr_b64 v[8:11], v74 offset0:195 offset1:234
	v_add_nc_u32_e32 v20, 0x800, v74
	s_wait_dscnt 0x2
	v_dual_mul_f32 v42, v37, v3 :: v_dual_mul_f32 v43, v39, v41
	v_mul_f32_e32 v39, v39, v40
	ds_load_2addr_b64 v[16:19], v20 offset0:17 offset1:56
	ds_load_2addr_b64 v[20:23], v20 offset0:95 offset1:134
	s_wait_dscnt 0x3
	v_dual_mul_f32 v44, v33, v5 :: v_dual_mul_f32 v45, v35, v7
	v_mul_f32_e32 v37, v37, v2
	v_dual_mul_f32 v33, v33, v4 :: v_dual_fmac_f32 v42, v36, v2
	s_wait_dscnt 0x2
	v_dual_mul_f32 v35, v35, v6 :: v_dual_mul_f32 v46, v25, v9
	v_fmac_f32_e32 v43, v38, v40
	v_fmac_f32_e32 v44, v32, v4
	v_fma_f32 v2, v36, v3, -v37
	s_delay_alu instid0(VALU_DEP_4) | instskip(SKIP_4) | instid1(VALU_DEP_4)
	v_dual_fmac_f32 v45, v34, v6 :: v_dual_fmac_f32 v46, v24, v8
	v_dual_mul_f32 v6, v27, v11 :: v_dual_mul_f32 v3, v25, v8
	v_fma_f32 v36, v38, v41, -v39
	v_fma_f32 v4, v32, v5, -v33
	v_fma_f32 v5, v34, v7, -v35
	v_fmac_f32_e32 v6, v26, v10
	v_add_f32_e32 v7, v0, v42
	v_fma_f32 v9, v24, v9, -v3
	s_wait_dscnt 0x1
	v_dual_mul_f32 v3, v27, v10 :: v_dual_mul_f32 v10, v13, v17
	s_delay_alu instid0(VALU_DEP_3) | instskip(SKIP_1) | instid1(VALU_DEP_2)
	v_dual_add_f32 v8, v1, v2 :: v_dual_add_f32 v7, v7, v43
	v_mul_f32_e32 v13, v13, v16
	v_add_f32_e32 v8, v8, v36
	s_delay_alu instid0(VALU_DEP_4) | instskip(NEXT) | instid1(VALU_DEP_4)
	v_fma_f32 v11, v26, v11, -v3
	v_add_f32_e32 v3, v7, v44
	v_fmac_f32_e32 v10, v12, v16
	s_wait_dscnt 0x0
	v_dual_mul_f32 v16, v31, v23 :: v_dual_add_f32 v7, v8, v4
	v_fma_f32 v8, v12, v17, -v13
	v_mul_f32_e32 v12, v15, v19
	v_mul_f32_e32 v13, v15, v18
	s_delay_alu instid0(VALU_DEP_4) | instskip(NEXT) | instid1(VALU_DEP_3)
	v_dual_mul_f32 v15, v29, v21 :: v_dual_fmac_f32 v16, v30, v22
	v_fmac_f32_e32 v12, v14, v18
	s_delay_alu instid0(VALU_DEP_3) | instskip(SKIP_3) | instid1(VALU_DEP_3)
	v_fma_f32 v13, v14, v19, -v13
	v_mul_f32_e32 v14, v31, v22
	v_add_f32_e32 v3, v3, v45
	v_add_f32_e32 v7, v7, v5
	v_fma_f32 v14, v30, v23, -v14
	s_delay_alu instid0(VALU_DEP_3) | instskip(SKIP_2) | instid1(VALU_DEP_4)
	v_add_f32_e32 v3, v3, v46
	v_fmac_f32_e32 v15, v28, v20
	v_mul_f32_e32 v17, v29, v20
	v_dual_add_f32 v7, v7, v9 :: v_dual_sub_f32 v18, v2, v14
	s_delay_alu instid0(VALU_DEP_1) | instskip(NEXT) | instid1(VALU_DEP_2)
	v_dual_add_f32 v20, v2, v14 :: v_dual_add_f32 v7, v7, v11
	v_mul_f32_e32 v26, 0xbf7d64f0, v18
	s_delay_alu instid0(VALU_DEP_2) | instskip(SKIP_1) | instid1(VALU_DEP_4)
	v_dual_mul_f32 v22, 0x3f575c64, v20 :: v_dual_add_f32 v3, v3, v6
	v_mul_f32_e32 v32, 0xbf27a4f4, v20
	v_add_f32_e32 v7, v7, v8
	s_delay_alu instid0(VALU_DEP_3) | instskip(NEXT) | instid1(VALU_DEP_2)
	v_add_f32_e32 v3, v3, v10
	v_add_f32_e32 v7, v7, v13
	s_delay_alu instid0(VALU_DEP_2) | instskip(NEXT) | instid1(VALU_DEP_1)
	v_add_f32_e32 v3, v3, v12
	v_add_f32_e32 v2, v3, v15
	v_fma_f32 v17, v28, v21, -v17
	v_mul_f32_e32 v28, 0xbe11bafb, v20
	s_delay_alu instid0(VALU_DEP_2) | instskip(NEXT) | instid1(VALU_DEP_1)
	v_dual_add_f32 v2, v2, v16 :: v_dual_add_f32 v3, v7, v17
	v_add_f32_e32 v3, v3, v14
	v_dual_mul_f32 v14, 0xbf68dda4, v18 :: v_dual_sub_f32 v7, v42, v16
	s_delay_alu instid0(VALU_DEP_1) | instskip(NEXT) | instid1(VALU_DEP_1)
	v_dual_add_f32 v19, v42, v16 :: v_dual_fmamk_f32 v16, v7, 0x3f0a6770, v22
	v_fmamk_f32 v24, v19, 0x3ed4b147, v14
	v_fmamk_f32 v29, v19, 0xbe11bafb, v26
	;; [unrolled: 1-line block ×3, first 2 shown]
	v_fmac_f32_e32 v28, 0xbf7d64f0, v7
	v_mul_f32_e32 v21, 0xbf0a6770, v18
	v_fma_f32 v14, 0x3ed4b147, v19, -v14
	v_fma_f32 v26, 0xbe11bafb, v19, -v26
	v_mul_f32_e32 v25, 0x3ed4b147, v20
	s_delay_alu instid0(VALU_DEP_4) | instskip(NEXT) | instid1(VALU_DEP_4)
	v_dual_add_f32 v28, v1, v28 :: v_dual_fmamk_f32 v23, v19, 0x3f575c64, v21
	v_add_f32_e32 v14, v0, v14
	v_fma_f32 v21, 0x3f575c64, v19, -v21
	v_add_f32_e32 v26, v0, v26
	v_fmamk_f32 v34, v7, 0x3f4178ce, v32
	v_fmamk_f32 v27, v7, 0x3f68dda4, v25
	v_dual_mul_f32 v31, 0xbf4178ce, v18 :: v_dual_fmac_f32 v32, 0xbf4178ce, v7
	v_add_f32_e32 v21, v0, v21
	v_fmac_f32_e32 v25, 0xbf68dda4, v7
	v_mul_f32_e32 v18, 0xbe903f40, v18
	v_add_f32_e32 v34, v1, v34
	v_add_f32_e32 v32, v1, v32
	;; [unrolled: 1-line block ×4, first 2 shown]
	v_dual_add_f32 v25, v1, v25 :: v_dual_mul_f32 v20, 0xbf75a155, v20
	v_fmamk_f32 v35, v19, 0xbf75a155, v18
	v_fma_f32 v18, 0xbf75a155, v19, -v18
	v_fmamk_f32 v33, v19, 0xbf27a4f4, v31
	v_fma_f32 v31, 0xbf27a4f4, v19, -v31
	v_dual_fmac_f32 v22, 0xbf0a6770, v7 :: v_dual_sub_f32 v37, v36, v17
	v_fmamk_f32 v38, v7, 0x3e903f40, v20
	v_fmac_f32_e32 v20, 0xbe903f40, v7
	s_delay_alu instid0(VALU_DEP_4) | instskip(SKIP_4) | instid1(VALU_DEP_3)
	v_add_f32_e32 v31, v0, v31
	v_sub_f32_e32 v7, v43, v15
	v_add_f32_e32 v17, v36, v17
	v_dual_add_f32 v24, v0, v24 :: v_dual_add_f32 v19, v43, v15
	v_dual_add_f32 v22, v1, v22 :: v_dual_add_f32 v33, v0, v33
	v_mul_f32_e32 v15, 0x3ed4b147, v17
	v_dual_add_f32 v35, v0, v35 :: v_dual_mul_f32 v36, 0xbf68dda4, v37
	v_dual_add_f32 v38, v1, v38 :: v_dual_add_f32 v29, v0, v29
	v_dual_add_f32 v23, v0, v23 :: v_dual_add_f32 v30, v1, v30
	;; [unrolled: 1-line block ×3, first 2 shown]
	v_fmamk_f32 v18, v7, 0x3f68dda4, v15
	v_mul_f32_e32 v20, 0xbf4178ce, v37
	v_fmamk_f32 v39, v19, 0x3ed4b147, v36
	v_fma_f32 v36, 0x3ed4b147, v19, -v36
	v_mul_f32_e32 v40, 0xbf75a155, v17
	v_add_f32_e32 v16, v18, v16
	v_fmamk_f32 v18, v19, 0xbf27a4f4, v20
	v_fma_f32 v20, 0xbf27a4f4, v19, -v20
	s_delay_alu instid0(VALU_DEP_2) | instskip(NEXT) | instid1(VALU_DEP_2)
	v_dual_add_f32 v23, v39, v23 :: v_dual_add_f32 v18, v18, v24
	v_dual_fmac_f32 v15, 0xbf68dda4, v7 :: v_dual_add_f32 v14, v20, v14
	s_delay_alu instid0(VALU_DEP_1) | instskip(NEXT) | instid1(VALU_DEP_1)
	v_dual_add_f32 v15, v15, v22 :: v_dual_mul_f32 v22, 0x3e903f40, v37
	v_dual_add_f32 v21, v36, v21 :: v_dual_fmamk_f32 v36, v19, 0xbf75a155, v22
	v_fma_f32 v22, 0xbf75a155, v19, -v22
	s_delay_alu instid0(VALU_DEP_1) | instskip(NEXT) | instid1(VALU_DEP_1)
	v_dual_mul_f32 v39, 0xbf27a4f4, v17 :: v_dual_add_f32 v22, v22, v26
	v_fmamk_f32 v24, v7, 0x3f4178ce, v39
	s_delay_alu instid0(VALU_DEP_1) | instskip(NEXT) | instid1(VALU_DEP_1)
	v_dual_add_f32 v24, v24, v27 :: v_dual_fmamk_f32 v27, v7, 0xbe903f40, v40
	v_dual_fmac_f32 v40, 0x3e903f40, v7 :: v_dual_add_f32 v27, v27, v30
	s_delay_alu instid0(VALU_DEP_1) | instskip(NEXT) | instid1(VALU_DEP_1)
	v_dual_fmac_f32 v39, 0xbf4178ce, v7 :: v_dual_add_f32 v28, v40, v28
	v_add_f32_e32 v20, v39, v25
	v_add_f32_e32 v25, v36, v29
	v_mul_f32_e32 v36, 0xbe11bafb, v17
	v_mul_f32_e32 v17, 0x3f575c64, v17
	s_delay_alu instid0(VALU_DEP_2) | instskip(SKIP_1) | instid1(VALU_DEP_2)
	v_fmamk_f32 v26, v7, 0xbf7d64f0, v36
	v_dual_mul_f32 v29, 0x3f7d64f0, v37 :: v_dual_fmac_f32 v36, 0x3f7d64f0, v7
	v_dual_mul_f32 v37, 0x3f0a6770, v37 :: v_dual_add_f32 v26, v26, v34
	s_delay_alu instid0(VALU_DEP_2) | instskip(NEXT) | instid1(VALU_DEP_3)
	v_fmamk_f32 v30, v19, 0xbe11bafb, v29
	v_add_f32_e32 v32, v36, v32
	v_fma_f32 v29, 0xbe11bafb, v19, -v29
	v_fmamk_f32 v34, v7, 0xbf0a6770, v17
	s_delay_alu instid0(VALU_DEP_4) | instskip(NEXT) | instid1(VALU_DEP_3)
	v_dual_add_f32 v30, v30, v33 :: v_dual_fmamk_f32 v33, v19, 0x3f575c64, v37
	v_add_f32_e32 v29, v29, v31
	v_sub_f32_e32 v31, v4, v13
	v_add_f32_e32 v4, v4, v13
	v_fma_f32 v13, 0x3f575c64, v19, -v37
	v_add_f32_e32 v33, v33, v35
	v_dual_add_f32 v35, v44, v12 :: v_dual_add_f32 v34, v34, v38
	s_delay_alu instid0(VALU_DEP_3) | instskip(SKIP_2) | instid1(VALU_DEP_3)
	v_dual_fmac_f32 v17, 0x3f0a6770, v7 :: v_dual_add_f32 v0, v13, v0
	v_dual_mul_f32 v36, 0xbf7d64f0, v31 :: v_dual_sub_f32 v7, v44, v12
	v_mul_f32_e32 v19, 0xbe11bafb, v4
	v_add_f32_e32 v1, v17, v1
	v_mul_f32_e32 v17, 0x3e903f40, v31
	s_delay_alu instid0(VALU_DEP_4) | instskip(SKIP_1) | instid1(VALU_DEP_2)
	v_fmamk_f32 v12, v35, 0xbe11bafb, v36
	v_mul_f32_e32 v37, 0x3f575c64, v4
	v_dual_fmamk_f32 v13, v7, 0x3f7d64f0, v19 :: v_dual_add_f32 v12, v12, v23
	v_fma_f32 v23, 0xbe11bafb, v35, -v36
	s_delay_alu instid0(VALU_DEP_2) | instskip(NEXT) | instid1(VALU_DEP_2)
	v_dual_add_f32 v13, v13, v16 :: v_dual_fmamk_f32 v16, v35, 0xbf75a155, v17
	v_dual_mul_f32 v36, 0xbf75a155, v4 :: v_dual_add_f32 v21, v23, v21
	s_delay_alu instid0(VALU_DEP_2) | instskip(SKIP_1) | instid1(VALU_DEP_1)
	v_add_f32_e32 v16, v16, v18
	v_fma_f32 v17, 0xbf75a155, v35, -v17
	v_dual_fmac_f32 v19, 0xbf7d64f0, v7 :: v_dual_add_f32 v14, v17, v14
	s_delay_alu instid0(VALU_DEP_1) | instskip(SKIP_1) | instid1(VALU_DEP_1)
	v_add_f32_e32 v15, v19, v15
	v_fmamk_f32 v19, v7, 0xbe903f40, v36
	v_dual_mul_f32 v23, 0x3f68dda4, v31 :: v_dual_add_f32 v18, v19, v24
	s_delay_alu instid0(VALU_DEP_1) | instskip(SKIP_3) | instid1(VALU_DEP_4)
	v_fmamk_f32 v19, v35, 0x3ed4b147, v23
	v_fmac_f32_e32 v36, 0x3e903f40, v7
	v_mul_f32_e32 v24, 0x3ed4b147, v4
	v_fma_f32 v23, 0x3ed4b147, v35, -v23
	v_add_f32_e32 v19, v19, v25
	s_delay_alu instid0(VALU_DEP_4) | instskip(NEXT) | instid1(VALU_DEP_4)
	v_dual_add_f32 v17, v36, v20 :: v_dual_mul_f32 v20, 0xbf0a6770, v31
	v_fmamk_f32 v25, v7, 0xbf68dda4, v24
	v_fmac_f32_e32 v24, 0x3f68dda4, v7
	v_add_f32_e32 v22, v23, v22
	s_delay_alu instid0(VALU_DEP_4) | instskip(SKIP_1) | instid1(VALU_DEP_4)
	v_fmamk_f32 v36, v35, 0x3f575c64, v20
	v_fma_f32 v20, 0x3f575c64, v35, -v20
	v_dual_add_f32 v23, v24, v28 :: v_dual_mul_f32 v28, 0xbf4178ce, v31
	v_sub_f32_e32 v31, v5, v8
	v_mul_f32_e32 v4, 0xbf27a4f4, v4
	v_dual_add_f32 v24, v36, v30 :: v_dual_add_f32 v5, v5, v8
	v_add_f32_e32 v20, v20, v29
	s_delay_alu instid0(VALU_DEP_4) | instskip(NEXT) | instid1(VALU_DEP_4)
	v_mul_f32_e32 v8, 0xbf4178ce, v31
	v_fmamk_f32 v30, v7, 0x3f4178ce, v4
	s_delay_alu instid0(VALU_DEP_1) | instskip(SKIP_2) | instid1(VALU_DEP_1)
	v_dual_add_f32 v30, v30, v34 :: v_dual_add_f32 v25, v25, v27
	v_fmamk_f32 v27, v7, 0x3f0a6770, v37
	v_fmac_f32_e32 v37, 0xbf0a6770, v7
	v_add_f32_e32 v29, v37, v32
	v_add_f32_e32 v32, v45, v10
	s_delay_alu instid0(VALU_DEP_4) | instskip(SKIP_4) | instid1(VALU_DEP_4)
	v_add_f32_e32 v26, v27, v26
	v_fmamk_f32 v27, v35, 0xbf27a4f4, v28
	v_dual_fmac_f32 v4, 0xbf4178ce, v7 :: v_dual_sub_f32 v7, v45, v10
	v_fma_f32 v28, 0xbf27a4f4, v35, -v28
	v_mul_f32_e32 v10, 0xbf27a4f4, v5
	v_add_f32_e32 v27, v27, v33
	v_fmamk_f32 v33, v32, 0xbf27a4f4, v8
	v_dual_add_f32 v1, v4, v1 :: v_dual_mul_f32 v4, 0x3f7d64f0, v31
	v_add_f32_e32 v0, v28, v0
	v_fma_f32 v8, 0xbf27a4f4, v32, -v8
	s_delay_alu instid0(VALU_DEP_3) | instskip(SKIP_3) | instid1(VALU_DEP_2)
	v_dual_add_f32 v12, v33, v12 :: v_dual_fmamk_f32 v33, v32, 0xbe11bafb, v4
	v_fmamk_f32 v28, v7, 0x3f4178ce, v10
	v_fmac_f32_e32 v10, 0xbf4178ce, v7
	v_fma_f32 v4, 0xbe11bafb, v32, -v4
	v_dual_add_f32 v10, v10, v15 :: v_dual_add_f32 v15, v33, v16
	v_mul_f32_e32 v33, 0x3f575c64, v5
	v_dual_mul_f32 v16, 0xbf0a6770, v31 :: v_dual_add_f32 v13, v28, v13
	s_delay_alu instid0(VALU_DEP_4) | instskip(NEXT) | instid1(VALU_DEP_3)
	v_add_f32_e32 v14, v4, v14
	v_fmamk_f32 v4, v7, 0x3f0a6770, v33
	s_delay_alu instid0(VALU_DEP_3) | instskip(SKIP_2) | instid1(VALU_DEP_4)
	v_fmamk_f32 v34, v32, 0x3f575c64, v16
	v_mul_f32_e32 v28, 0xbe11bafb, v5
	v_fmac_f32_e32 v33, 0xbf0a6770, v7
	v_add_f32_e32 v25, v4, v25
	s_delay_alu instid0(VALU_DEP_4) | instskip(NEXT) | instid1(VALU_DEP_4)
	v_dual_add_f32 v19, v34, v19 :: v_dual_add_f32 v8, v8, v21
	v_fmamk_f32 v21, v7, 0xbf7d64f0, v28
	v_fmac_f32_e32 v28, 0x3f7d64f0, v7
	v_mul_f32_e32 v4, 0xbf75a155, v5
	s_delay_alu instid0(VALU_DEP_3) | instskip(SKIP_1) | instid1(VALU_DEP_4)
	v_dual_mul_f32 v5, 0x3ed4b147, v5 :: v_dual_add_f32 v18, v21, v18
	v_mul_f32_e32 v21, 0xbe903f40, v31
	v_add_f32_e32 v17, v28, v17
	v_fma_f32 v16, 0x3f575c64, v32, -v16
	s_delay_alu instid0(VALU_DEP_3) | instskip(SKIP_1) | instid1(VALU_DEP_3)
	v_fmamk_f32 v28, v32, 0xbf75a155, v21
	v_fma_f32 v21, 0xbf75a155, v32, -v21
	v_add_f32_e32 v16, v16, v22
	v_add_f32_e32 v22, v33, v23
	v_mul_f32_e32 v23, 0x3f68dda4, v31
	v_fmamk_f32 v31, v7, 0x3e903f40, v4
	s_delay_alu instid0(VALU_DEP_1) | instskip(SKIP_1) | instid1(VALU_DEP_1)
	v_add_f32_e32 v26, v31, v26
	v_dual_add_f32 v31, v46, v6 :: v_dual_fmac_f32 v4, 0xbe903f40, v7
	v_dual_add_f32 v20, v21, v20 :: v_dual_add_f32 v21, v4, v29
	v_dual_add_f32 v29, v9, v11 :: v_dual_fmamk_f32 v4, v7, 0xbf68dda4, v5
	v_fmac_f32_e32 v5, 0x3f68dda4, v7
	s_delay_alu instid0(VALU_DEP_2) | instskip(SKIP_2) | instid1(VALU_DEP_4)
	v_dual_mul_f32 v7, 0xbf75a155, v29 :: v_dual_add_f32 v24, v28, v24
	v_fmamk_f32 v28, v32, 0x3ed4b147, v23
	v_fma_f32 v23, 0x3ed4b147, v32, -v23
	v_dual_sub_f32 v32, v46, v6 :: v_dual_add_f32 v1, v5, v1
	s_delay_alu instid0(VALU_DEP_1) | instskip(SKIP_1) | instid1(VALU_DEP_2)
	v_dual_add_f32 v0, v23, v0 :: v_dual_fmamk_f32 v5, v32, 0x3e903f40, v7
	v_fmac_f32_e32 v7, 0xbe903f40, v32
	v_add_f32_e32 v5, v5, v13
	v_add_f32_e32 v27, v28, v27
	v_sub_f32_e32 v28, v9, v11
	v_add_f32_e32 v30, v4, v30
	v_add_f32_e32 v7, v7, v10
	s_delay_alu instid0(VALU_DEP_3) | instskip(SKIP_1) | instid1(VALU_DEP_2)
	v_mul_f32_e32 v11, 0x3f0a6770, v28
	v_mul_f32_e32 v9, 0xbe903f40, v28
	v_fma_f32 v10, 0x3f575c64, v31, -v11
	s_delay_alu instid0(VALU_DEP_2) | instskip(SKIP_2) | instid1(VALU_DEP_4)
	v_fmamk_f32 v4, v31, 0xbf75a155, v9
	v_fma_f32 v6, 0xbf75a155, v31, -v9
	v_fmamk_f32 v9, v31, 0x3f575c64, v11
	v_dual_mul_f32 v13, 0xbf4178ce, v28 :: v_dual_add_f32 v10, v10, v14
	s_delay_alu instid0(VALU_DEP_4) | instskip(SKIP_2) | instid1(VALU_DEP_4)
	v_add_f32_e32 v4, v4, v12
	v_mul_f32_e32 v12, 0x3f575c64, v29
	v_add_f32_e32 v6, v6, v8
	v_dual_add_f32 v8, v9, v15 :: v_dual_fmamk_f32 v15, v31, 0xbf27a4f4, v13
	v_mul_f32_e32 v23, 0xbf27a4f4, v29
	s_delay_alu instid0(VALU_DEP_4) | instskip(NEXT) | instid1(VALU_DEP_2)
	v_fmamk_f32 v9, v32, 0xbf0a6770, v12
	v_fmamk_f32 v14, v32, 0x3f4178ce, v23
	s_delay_alu instid0(VALU_DEP_2) | instskip(NEXT) | instid1(VALU_DEP_1)
	v_dual_fmac_f32 v12, 0x3f0a6770, v32 :: v_dual_add_f32 v9, v9, v18
	v_dual_add_f32 v11, v12, v17 :: v_dual_add_f32 v12, v15, v19
	v_mul_f32_e32 v17, 0x3f68dda4, v28
	v_fma_f32 v15, 0xbf27a4f4, v31, -v13
	v_fmac_f32_e32 v23, 0xbf4178ce, v32
	v_mul_f32_e32 v19, 0x3ed4b147, v29
	s_delay_alu instid0(VALU_DEP_4) | instskip(NEXT) | instid1(VALU_DEP_4)
	v_dual_add_f32 v13, v14, v25 :: v_dual_fmamk_f32 v18, v31, 0x3ed4b147, v17
	v_dual_add_f32 v14, v15, v16 :: v_dual_mul_f32 v25, 0xbe11bafb, v29
	s_delay_alu instid0(VALU_DEP_3) | instskip(SKIP_2) | instid1(VALU_DEP_2)
	v_dual_add_f32 v15, v23, v22 :: v_dual_fmamk_f32 v22, v32, 0xbf68dda4, v19
	v_fmac_f32_e32 v19, 0x3f68dda4, v32
	v_fma_f32 v23, 0x3ed4b147, v31, -v17
	v_add_f32_e32 v19, v19, v21
	s_delay_alu instid0(VALU_DEP_4) | instskip(SKIP_3) | instid1(VALU_DEP_4)
	v_dual_add_f32 v17, v22, v26 :: v_dual_fmamk_f32 v22, v32, 0x3f7d64f0, v25
	v_fmac_f32_e32 v25, 0xbf7d64f0, v32
	v_add_f32_e32 v16, v18, v24
	v_mul_f32_e32 v24, 0xbf7d64f0, v28
	v_dual_add_f32 v18, v23, v20 :: v_dual_add_f32 v21, v22, v30
	s_delay_alu instid0(VALU_DEP_2) | instskip(SKIP_1) | instid1(VALU_DEP_2)
	v_fma_f32 v23, 0xbe11bafb, v31, -v24
	v_fmamk_f32 v20, v31, 0xbe11bafb, v24
	v_add_f32_e32 v22, v23, v0
	v_add_nc_u32_e32 v0, 0x800, v73
	s_delay_alu instid0(VALU_DEP_3)
	v_dual_add_f32 v20, v20, v27 :: v_dual_add_f32 v23, v25, v1
	ds_store_b64 v73, v[2:3]
	ds_store_2addr_b64 v73, v[4:5], v[8:9] offset0:39 offset1:78
	ds_store_2addr_b64 v73, v[12:13], v[16:17] offset0:117 offset1:156
	;; [unrolled: 1-line block ×5, first 2 shown]
	global_wb scope:SCOPE_SE
	s_wait_dscnt 0x0
	s_barrier_signal -1
	s_barrier_wait -1
	global_inv scope:SCOPE_SE
	s_and_b32 exec_lo, exec_lo, vcc_lo
	s_cbranch_execz .LBB0_23
; %bb.22:
	s_clause 0xb
	global_load_b64 v[25:26], v69, s[8:9]
	global_load_b64 v[27:28], v69, s[8:9] offset:264
	global_load_b64 v[29:30], v69, s[8:9] offset:528
	global_load_b64 v[31:32], v69, s[8:9] offset:792
	global_load_b64 v[33:34], v69, s[8:9] offset:1056
	global_load_b64 v[35:36], v69, s[8:9] offset:1320
	global_load_b64 v[37:38], v69, s[8:9] offset:1584
	global_load_b64 v[39:40], v69, s[8:9] offset:1848
	global_load_b64 v[41:42], v69, s[8:9] offset:2112
	global_load_b64 v[43:44], v69, s[8:9] offset:2376
	global_load_b64 v[45:46], v69, s[8:9] offset:2640
	global_load_b64 v[47:48], v69, s[8:9] offset:2904
	v_mad_co_u64_u32 v[13:14], null, s6, v64, 0
	v_mad_co_u64_u32 v[49:50], null, s4, v70, 0
	s_mov_b32 s2, 0x58e9ebb6
	s_mov_b32 s3, 0x3f631877
	s_mul_u64 s[0:1], s[4:5], 0x108
	s_delay_alu instid0(VALU_DEP_2) | instskip(NEXT) | instid1(VALU_DEP_2)
	v_mov_b32_e32 v1, v14
	v_mov_b32_e32 v5, v50
	s_delay_alu instid0(VALU_DEP_2) | instskip(NEXT) | instid1(VALU_DEP_2)
	v_mad_co_u64_u32 v[9:10], null, s7, v64, v[1:2]
	v_mad_co_u64_u32 v[15:16], null, s5, v70, v[5:6]
	ds_load_b64 v[51:52], v73
	ds_load_2addr_b64 v[1:4], v73 offset0:33 offset1:66
	ds_load_2addr_b64 v[5:8], v73 offset0:99 offset1:132
	v_dual_mov_b32 v14, v9 :: v_dual_add_nc_u32 v21, 0x400, v73
	ds_load_2addr_b64 v[9:12], v73 offset0:165 offset1:198
	v_mov_b32_e32 v50, v15
	v_lshlrev_b64_e32 v[53:54], 3, v[13:14]
	ds_load_2addr_b64 v[13:16], v0 offset0:41 offset1:74
	ds_load_2addr_b64 v[17:20], v0 offset0:107 offset1:140
	;; [unrolled: 1-line block ×3, first 2 shown]
	v_lshlrev_b64_e32 v[49:50], 3, v[49:50]
	v_add_co_u32 v53, vcc_lo, s12, v53
	v_add_co_ci_u32_e32 v54, vcc_lo, s13, v54, vcc_lo
	s_delay_alu instid0(VALU_DEP_2) | instskip(SKIP_1) | instid1(VALU_DEP_2)
	v_add_co_u32 v49, vcc_lo, v53, v49
	s_wait_alu 0xfffd
	v_add_co_ci_u32_e32 v50, vcc_lo, v54, v50, vcc_lo
	s_wait_alu 0xfffe
	s_delay_alu instid0(VALU_DEP_2) | instskip(SKIP_1) | instid1(VALU_DEP_2)
	v_add_co_u32 v53, vcc_lo, v49, s0
	s_wait_alu 0xfffd
	v_add_co_ci_u32_e32 v54, vcc_lo, s1, v50, vcc_lo
	s_wait_loadcnt_dscnt 0xb06
	v_mul_f32_e32 v0, v52, v26
	s_wait_loadcnt_dscnt 0xa05
	v_dual_mul_f32 v26, v51, v26 :: v_dual_mul_f32 v55, v2, v28
	v_mul_f32_e32 v28, v1, v28
	s_wait_loadcnt_dscnt 0x804
	v_dual_mul_f32 v56, v4, v30 :: v_dual_mul_f32 v57, v6, v32
	s_wait_loadcnt_dscnt 0x603
	v_dual_mul_f32 v30, v3, v30 :: v_dual_mul_f32 v59, v10, v36
	v_mul_f32_e32 v32, v5, v32
	s_wait_loadcnt_dscnt 0x400
	v_dual_mul_f32 v58, v8, v34 :: v_dual_mul_f32 v61, v22, v40
	s_wait_loadcnt 0x2
	v_dual_mul_f32 v34, v7, v34 :: v_dual_mul_f32 v63, v14, v44
	v_mul_f32_e32 v36, v9, v36
	s_wait_loadcnt 0x0
	v_dual_mul_f32 v60, v12, v38 :: v_dual_mul_f32 v65, v18, v48
	v_fmac_f32_e32 v0, v51, v25
	v_fma_f32 v25, v25, v52, -v26
	v_dual_mul_f32 v38, v11, v38 :: v_dual_fmac_f32 v55, v1, v27
	v_fma_f32 v26, v27, v2, -v28
	v_mul_f32_e32 v40, v21, v40
	v_fmac_f32_e32 v56, v3, v29
	v_fma_f32 v27, v29, v4, -v30
	v_dual_mul_f32 v62, v24, v42 :: v_dual_fmac_f32 v57, v5, v31
	v_dual_mul_f32 v42, v23, v42 :: v_dual_fmac_f32 v59, v9, v35
	v_mul_f32_e32 v44, v13, v44
	v_dual_mul_f32 v64, v16, v46 :: v_dual_fmac_f32 v61, v21, v39
	v_fma_f32 v28, v31, v6, -v32
	v_dual_mul_f32 v46, v15, v46 :: v_dual_fmac_f32 v63, v13, v43
	v_fmac_f32_e32 v58, v7, v33
	v_fma_f32 v29, v33, v8, -v34
	v_fma_f32 v30, v35, v10, -v36
	v_fmac_f32_e32 v65, v17, v47
	v_cvt_f64_f32_e32 v[0:1], v0
	v_cvt_f64_f32_e32 v[2:3], v25
	v_mul_f32_e32 v48, v17, v48
	v_fmac_f32_e32 v60, v11, v37
	v_fma_f32 v31, v37, v12, -v38
	v_cvt_f64_f32_e32 v[4:5], v55
	v_cvt_f64_f32_e32 v[6:7], v26
	v_fma_f32 v33, v39, v22, -v40
	v_cvt_f64_f32_e32 v[8:9], v56
	v_cvt_f64_f32_e32 v[10:11], v27
	v_fmac_f32_e32 v62, v23, v41
	v_fma_f32 v37, v41, v24, -v42
	v_fma_f32 v41, v43, v14, -v44
	v_fmac_f32_e32 v64, v15, v45
	v_cvt_f64_f32_e32 v[12:13], v57
	v_cvt_f64_f32_e32 v[14:15], v28
	v_fma_f32 v45, v45, v16, -v46
	v_cvt_f64_f32_e32 v[16:17], v58
	v_cvt_f64_f32_e32 v[21:22], v29
	;; [unrolled: 1-line block ×4, first 2 shown]
	v_fma_f32 v18, v47, v18, -v48
	v_cvt_f64_f32_e32 v[27:28], v60
	v_cvt_f64_f32_e32 v[29:30], v31
	;; [unrolled: 1-line block ×12, first 2 shown]
	v_add_co_u32 v55, vcc_lo, v53, s0
	s_wait_alu 0xfffd
	v_add_co_ci_u32_e32 v56, vcc_lo, s1, v54, vcc_lo
	v_mul_f64_e32 v[0:1], s[2:3], v[0:1]
	v_mul_f64_e32 v[2:3], s[2:3], v[2:3]
	v_add_co_u32 v57, vcc_lo, v55, s0
	s_wait_alu 0xfffd
	v_add_co_ci_u32_e32 v58, vcc_lo, s1, v56, vcc_lo
	v_mul_f64_e32 v[4:5], s[2:3], v[4:5]
	v_mul_f64_e32 v[6:7], s[2:3], v[6:7]
	;; [unrolled: 1-line block ×4, first 2 shown]
	v_add_co_u32 v59, vcc_lo, v57, s0
	s_wait_alu 0xfffd
	v_add_co_ci_u32_e32 v60, vcc_lo, s1, v58, vcc_lo
	v_mul_f64_e32 v[12:13], s[2:3], v[12:13]
	v_mul_f64_e32 v[14:15], s[2:3], v[14:15]
	v_add_co_u32 v61, vcc_lo, v59, s0
	v_mul_f64_e32 v[16:17], s[2:3], v[16:17]
	v_mul_f64_e32 v[21:22], s[2:3], v[21:22]
	;; [unrolled: 1-line block ×16, first 2 shown]
	s_wait_alu 0xfffd
	v_add_co_ci_u32_e32 v62, vcc_lo, s1, v60, vcc_lo
	v_cvt_f32_f64_e32 v0, v[0:1]
	v_cvt_f32_f64_e32 v1, v[2:3]
	;; [unrolled: 1-line block ×24, first 2 shown]
	v_add_co_u32 v27, vcc_lo, v61, s0
	s_wait_alu 0xfffd
	v_add_co_ci_u32_e32 v28, vcc_lo, s1, v62, vcc_lo
	s_delay_alu instid0(VALU_DEP_2) | instskip(SKIP_1) | instid1(VALU_DEP_2)
	v_add_co_u32 v29, vcc_lo, v27, s0
	s_wait_alu 0xfffd
	v_add_co_ci_u32_e32 v30, vcc_lo, s1, v28, vcc_lo
	s_delay_alu instid0(VALU_DEP_2) | instskip(SKIP_1) | instid1(VALU_DEP_2)
	;; [unrolled: 4-line block ×5, first 2 shown]
	v_add_co_u32 v37, vcc_lo, v35, s0
	s_wait_alu 0xfffd
	v_add_co_ci_u32_e32 v38, vcc_lo, s1, v36, vcc_lo
	s_clause 0x4
	global_store_b64 v[49:50], v[0:1], off
	global_store_b64 v[53:54], v[2:3], off
	;; [unrolled: 1-line block ×12, first 2 shown]
	global_load_b64 v[0:1], v69, s[8:9] offset:3168
	s_wait_loadcnt 0x0
	v_mul_f32_e32 v2, v20, v1
	v_mul_f32_e32 v1, v19, v1
	s_delay_alu instid0(VALU_DEP_2) | instskip(NEXT) | instid1(VALU_DEP_2)
	v_fmac_f32_e32 v2, v19, v0
	v_fma_f32 v3, v0, v20, -v1
	s_delay_alu instid0(VALU_DEP_2) | instskip(NEXT) | instid1(VALU_DEP_2)
	v_cvt_f64_f32_e32 v[0:1], v2
	v_cvt_f64_f32_e32 v[2:3], v3
	s_delay_alu instid0(VALU_DEP_2) | instskip(NEXT) | instid1(VALU_DEP_2)
	v_mul_f64_e32 v[0:1], s[2:3], v[0:1]
	v_mul_f64_e32 v[2:3], s[2:3], v[2:3]
	s_delay_alu instid0(VALU_DEP_2) | instskip(NEXT) | instid1(VALU_DEP_2)
	v_cvt_f32_f64_e32 v0, v[0:1]
	v_cvt_f32_f64_e32 v1, v[2:3]
	v_add_co_u32 v2, vcc_lo, v37, s0
	s_wait_alu 0xfffd
	v_add_co_ci_u32_e32 v3, vcc_lo, s1, v38, vcc_lo
	global_store_b64 v[2:3], v[0:1], off
.LBB0_23:
	s_nop 0
	s_sendmsg sendmsg(MSG_DEALLOC_VGPRS)
	s_endpgm
	.section	.rodata,"a",@progbits
	.p2align	6, 0x0
	.amdhsa_kernel bluestein_single_back_len429_dim1_sp_op_CI_CI
		.amdhsa_group_segment_fixed_size 10296
		.amdhsa_private_segment_fixed_size 0
		.amdhsa_kernarg_size 104
		.amdhsa_user_sgpr_count 2
		.amdhsa_user_sgpr_dispatch_ptr 0
		.amdhsa_user_sgpr_queue_ptr 0
		.amdhsa_user_sgpr_kernarg_segment_ptr 1
		.amdhsa_user_sgpr_dispatch_id 0
		.amdhsa_user_sgpr_private_segment_size 0
		.amdhsa_wavefront_size32 1
		.amdhsa_uses_dynamic_stack 0
		.amdhsa_enable_private_segment 0
		.amdhsa_system_sgpr_workgroup_id_x 1
		.amdhsa_system_sgpr_workgroup_id_y 0
		.amdhsa_system_sgpr_workgroup_id_z 0
		.amdhsa_system_sgpr_workgroup_info 0
		.amdhsa_system_vgpr_workitem_id 0
		.amdhsa_next_free_vgpr 205
		.amdhsa_next_free_sgpr 14
		.amdhsa_reserve_vcc 1
		.amdhsa_float_round_mode_32 0
		.amdhsa_float_round_mode_16_64 0
		.amdhsa_float_denorm_mode_32 3
		.amdhsa_float_denorm_mode_16_64 3
		.amdhsa_fp16_overflow 0
		.amdhsa_workgroup_processor_mode 1
		.amdhsa_memory_ordered 1
		.amdhsa_forward_progress 0
		.amdhsa_round_robin_scheduling 0
		.amdhsa_exception_fp_ieee_invalid_op 0
		.amdhsa_exception_fp_denorm_src 0
		.amdhsa_exception_fp_ieee_div_zero 0
		.amdhsa_exception_fp_ieee_overflow 0
		.amdhsa_exception_fp_ieee_underflow 0
		.amdhsa_exception_fp_ieee_inexact 0
		.amdhsa_exception_int_div_zero 0
	.end_amdhsa_kernel
	.text
.Lfunc_end0:
	.size	bluestein_single_back_len429_dim1_sp_op_CI_CI, .Lfunc_end0-bluestein_single_back_len429_dim1_sp_op_CI_CI
                                        ; -- End function
	.section	.AMDGPU.csdata,"",@progbits
; Kernel info:
; codeLenInByte = 16796
; NumSgprs: 16
; NumVgprs: 205
; ScratchSize: 0
; MemoryBound: 0
; FloatMode: 240
; IeeeMode: 1
; LDSByteSize: 10296 bytes/workgroup (compile time only)
; SGPRBlocks: 1
; VGPRBlocks: 25
; NumSGPRsForWavesPerEU: 16
; NumVGPRsForWavesPerEU: 205
; Occupancy: 7
; WaveLimiterHint : 1
; COMPUTE_PGM_RSRC2:SCRATCH_EN: 0
; COMPUTE_PGM_RSRC2:USER_SGPR: 2
; COMPUTE_PGM_RSRC2:TRAP_HANDLER: 0
; COMPUTE_PGM_RSRC2:TGID_X_EN: 1
; COMPUTE_PGM_RSRC2:TGID_Y_EN: 0
; COMPUTE_PGM_RSRC2:TGID_Z_EN: 0
; COMPUTE_PGM_RSRC2:TIDIG_COMP_CNT: 0
	.text
	.p2alignl 7, 3214868480
	.fill 96, 4, 3214868480
	.type	__hip_cuid_13b1e1204bec347d,@object ; @__hip_cuid_13b1e1204bec347d
	.section	.bss,"aw",@nobits
	.globl	__hip_cuid_13b1e1204bec347d
__hip_cuid_13b1e1204bec347d:
	.byte	0                               ; 0x0
	.size	__hip_cuid_13b1e1204bec347d, 1

	.ident	"AMD clang version 19.0.0git (https://github.com/RadeonOpenCompute/llvm-project roc-6.4.0 25133 c7fe45cf4b819c5991fe208aaa96edf142730f1d)"
	.section	".note.GNU-stack","",@progbits
	.addrsig
	.addrsig_sym __hip_cuid_13b1e1204bec347d
	.amdgpu_metadata
---
amdhsa.kernels:
  - .args:
      - .actual_access:  read_only
        .address_space:  global
        .offset:         0
        .size:           8
        .value_kind:     global_buffer
      - .actual_access:  read_only
        .address_space:  global
        .offset:         8
        .size:           8
        .value_kind:     global_buffer
      - .actual_access:  read_only
        .address_space:  global
        .offset:         16
        .size:           8
        .value_kind:     global_buffer
      - .actual_access:  read_only
        .address_space:  global
        .offset:         24
        .size:           8
        .value_kind:     global_buffer
      - .actual_access:  read_only
        .address_space:  global
        .offset:         32
        .size:           8
        .value_kind:     global_buffer
      - .offset:         40
        .size:           8
        .value_kind:     by_value
      - .address_space:  global
        .offset:         48
        .size:           8
        .value_kind:     global_buffer
      - .address_space:  global
        .offset:         56
        .size:           8
        .value_kind:     global_buffer
      - .address_space:  global
        .offset:         64
        .size:           8
        .value_kind:     global_buffer
      - .address_space:  global
        .offset:         72
        .size:           8
        .value_kind:     global_buffer
      - .offset:         80
        .size:           4
        .value_kind:     by_value
      - .address_space:  global
        .offset:         88
        .size:           8
        .value_kind:     global_buffer
      - .address_space:  global
        .offset:         96
        .size:           8
        .value_kind:     global_buffer
    .group_segment_fixed_size: 10296
    .kernarg_segment_align: 8
    .kernarg_segment_size: 104
    .language:       OpenCL C
    .language_version:
      - 2
      - 0
    .max_flat_workgroup_size: 117
    .name:           bluestein_single_back_len429_dim1_sp_op_CI_CI
    .private_segment_fixed_size: 0
    .sgpr_count:     16
    .sgpr_spill_count: 0
    .symbol:         bluestein_single_back_len429_dim1_sp_op_CI_CI.kd
    .uniform_work_group_size: 1
    .uses_dynamic_stack: false
    .vgpr_count:     205
    .vgpr_spill_count: 0
    .wavefront_size: 32
    .workgroup_processor_mode: 1
amdhsa.target:   amdgcn-amd-amdhsa--gfx1201
amdhsa.version:
  - 1
  - 2
...

	.end_amdgpu_metadata
